;; amdgpu-corpus repo=ROCm/rocFFT kind=compiled arch=gfx1201 opt=O3
	.text
	.amdgcn_target "amdgcn-amd-amdhsa--gfx1201"
	.amdhsa_code_object_version 6
	.protected	bluestein_single_fwd_len119_dim1_dp_op_CI_CI ; -- Begin function bluestein_single_fwd_len119_dim1_dp_op_CI_CI
	.globl	bluestein_single_fwd_len119_dim1_dp_op_CI_CI
	.p2align	8
	.type	bluestein_single_fwd_len119_dim1_dp_op_CI_CI,@function
bluestein_single_fwd_len119_dim1_dp_op_CI_CI: ; @bluestein_single_fwd_len119_dim1_dp_op_CI_CI
; %bb.0:
	s_load_b128 s[8:11], s[0:1], 0x28
	v_mul_u32_u24_e32 v1, 0xf10, v0
	s_mov_b32 s2, exec_lo
	s_delay_alu instid0(VALU_DEP_1) | instskip(NEXT) | instid1(VALU_DEP_1)
	v_lshrrev_b32_e32 v1, 16, v1
	v_mad_co_u64_u32 v[254:255], null, ttmp9, 15, v[1:2]
	v_mov_b32_e32 v255, 0
	s_wait_kmcnt 0x0
	s_delay_alu instid0(VALU_DEP_1)
	v_cmpx_gt_u64_e64 s[8:9], v[254:255]
	s_cbranch_execz .LBB0_15
; %bb.1:
	v_mul_hi_u32 v2, 0x88888889, v254
	v_mul_lo_u16 v1, v1, 17
	s_clause 0x1
	s_load_b64 s[8:9], s[0:1], 0x0
	s_load_b64 s[12:13], s[0:1], 0x38
	s_delay_alu instid0(VALU_DEP_1) | instskip(NEXT) | instid1(VALU_DEP_3)
	v_sub_nc_u16 v0, v0, v1
	v_lshrrev_b32_e32 v2, 3, v2
	s_delay_alu instid0(VALU_DEP_2) | instskip(SKIP_1) | instid1(VALU_DEP_3)
	v_and_b32_e32 v255, 0xffff, v0
	v_cmp_gt_u16_e32 vcc_lo, 7, v0
	v_mul_lo_u32 v2, v2, 15
	s_delay_alu instid0(VALU_DEP_3) | instskip(SKIP_2) | instid1(VALU_DEP_4)
	v_lshlrev_b32_e32 v220, 4, v255
	v_or_b32_e32 v253, 56, v255
	v_or_b32_e32 v108, 0x70, v255
	v_sub_nc_u32_e32 v1, v254, v2
	s_delay_alu instid0(VALU_DEP_1) | instskip(NEXT) | instid1(VALU_DEP_1)
	v_mul_u32_u24_e32 v211, 0x77, v1
	v_lshlrev_b32_e32 v0, 4, v211
	scratch_store_b32 off, v0, off          ; 4-byte Folded Spill
	s_and_saveexec_b32 s3, vcc_lo
	s_cbranch_execz .LBB0_3
; %bb.2:
	s_load_b64 s[4:5], s[0:1], 0x18
	s_wait_kmcnt 0x0
	s_load_b128 s[4:7], s[4:5], 0x0
	s_wait_kmcnt 0x0
	v_mad_co_u64_u32 v[26:27], null, s6, v254, 0
	v_mad_co_u64_u32 v[24:25], null, s4, v255, 0
	;; [unrolled: 1-line block ×4, first 2 shown]
	s_delay_alu instid0(VALU_DEP_3) | instskip(NEXT) | instid1(VALU_DEP_1)
	v_dual_mov_b32 v0, v27 :: v_dual_mov_b32 v1, v25
	v_mad_co_u64_u32 v[8:9], null, s7, v254, v[0:1]
	v_mad_co_u64_u32 v[28:29], null, s5, v255, v[1:2]
	s_mul_u64 s[6:7], s[4:5], 0x70
	s_clause 0x1
	global_load_b128 v[4:7], v220, s[8:9]
	global_load_b128 v[0:3], v220, s[8:9] offset:112
	v_mov_b32_e32 v27, v8
	s_clause 0x3
	global_load_b128 v[12:15], v220, s[8:9] offset:224
	global_load_b128 v[8:11], v220, s[8:9] offset:336
	;; [unrolled: 1-line block ×4, first 2 shown]
	v_mov_b32_e32 v25, v28
	v_lshlrev_b64_e32 v[42:43], 4, v[26:27]
	s_clause 0x3
	global_load_b128 v[26:29], v220, s[8:9] offset:672
	global_load_b128 v[30:33], v220, s[8:9] offset:784
	;; [unrolled: 1-line block ×4, first 2 shown]
	v_lshlrev_b64_e32 v[24:25], 4, v[24:25]
	v_add_co_u32 v64, s2, s10, v42
	s_delay_alu instid0(VALU_DEP_1) | instskip(SKIP_1) | instid1(VALU_DEP_3)
	v_add_co_ci_u32_e64 v65, s2, s11, v43, s2
	v_mov_b32_e32 v42, v51
	v_add_co_u32 v24, s2, v64, v24
	s_wait_alu 0xf1ff
	s_delay_alu instid0(VALU_DEP_3)
	v_add_co_ci_u32_e64 v25, s2, v65, v25, s2
	v_mov_b32_e32 v43, v59
	s_wait_alu 0xfffe
	v_add_co_u32 v74, s2, v24, s6
	s_wait_alu 0xf1ff
	v_add_co_ci_u32_e64 v75, s2, s7, v25, s2
	v_mad_co_u64_u32 v[44:45], null, s5, v253, v[42:43]
	s_delay_alu instid0(VALU_DEP_3) | instskip(SKIP_1) | instid1(VALU_DEP_3)
	v_add_co_u32 v78, s2, v74, s6
	s_wait_alu 0xf1ff
	v_add_co_ci_u32_e64 v79, s2, s7, v75, s2
	s_delay_alu instid0(VALU_DEP_2) | instskip(SKIP_1) | instid1(VALU_DEP_2)
	v_add_co_u32 v82, s2, v78, s6
	s_wait_alu 0xf1ff
	v_add_co_ci_u32_e64 v83, s2, s7, v79, s2
	v_mad_co_u64_u32 v[52:53], null, s5, v108, v[43:44]
	s_delay_alu instid0(VALU_DEP_3) | instskip(SKIP_1) | instid1(VALU_DEP_3)
	v_add_co_u32 v86, s2, v82, s6
	s_wait_alu 0xf1ff
	v_add_co_ci_u32_e64 v87, s2, s7, v83, s2
	v_mov_b32_e32 v51, v44
	s_delay_alu instid0(VALU_DEP_3) | instskip(SKIP_1) | instid1(VALU_DEP_3)
	v_add_co_u32 v90, s2, v86, s6
	s_wait_alu 0xf1ff
	v_add_co_ci_u32_e64 v91, s2, s7, v87, s2
	v_mov_b32_e32 v59, v52
	s_delay_alu instid0(VALU_DEP_3) | instskip(SKIP_1) | instid1(VALU_DEP_3)
	v_add_co_u32 v94, s2, v90, s6
	s_wait_alu 0xf1ff
	v_add_co_ci_u32_e64 v95, s2, s7, v91, s2
	v_lshlrev_b64_e32 v[60:61], 4, v[50:51]
	s_delay_alu instid0(VALU_DEP_3) | instskip(SKIP_1) | instid1(VALU_DEP_3)
	v_add_co_u32 v98, s2, v94, s6
	s_wait_alu 0xf1ff
	v_add_co_ci_u32_e64 v99, s2, s7, v95, s2
	v_lshlrev_b64_e32 v[58:59], 4, v[58:59]
	s_delay_alu instid0(VALU_DEP_4) | instskip(NEXT) | instid1(VALU_DEP_3)
	v_add_co_u32 v62, s2, v64, v60
	v_mad_co_u64_u32 v[102:103], null, 0xe0, s4, v[98:99]
	s_wait_alu 0xf1ff
	v_add_co_ci_u32_e64 v63, s2, v65, v61, s2
	s_delay_alu instid0(VALU_DEP_4) | instskip(SKIP_2) | instid1(VALU_DEP_4)
	v_add_co_u32 v67, s2, v64, v58
	s_wait_alu 0xf1ff
	v_add_co_ci_u32_e64 v68, s2, v65, v59, s2
	v_mov_b32_e32 v66, v103
	s_clause 0x4
	global_load_b128 v[42:45], v220, s[8:9] offset:1120
	global_load_b128 v[46:49], v220, s[8:9] offset:1232
	;; [unrolled: 1-line block ×5, first 2 shown]
	global_load_b128 v[62:65], v[62:63], off
	v_mad_co_u64_u32 v[96:97], null, 0xe0, s5, v[66:67]
	s_clause 0x5
	global_load_b128 v[66:69], v[67:68], off
	global_load_b128 v[70:73], v[24:25], off
	;; [unrolled: 1-line block ×7, first 2 shown]
	v_add_co_u32 v24, s2, v102, s6
	global_load_b128 v[98:101], v[98:99], off
	v_mov_b32_e32 v103, v96
	global_load_b128 v[94:97], v[94:95], off
	s_wait_alu 0xf1ff
	v_add_co_ci_u32_e64 v25, s2, s7, v103, s2
	v_add_co_u32 v106, s2, v24, s6
	global_load_b128 v[102:105], v[102:103], off
	s_wait_alu 0xf1ff
	v_add_co_ci_u32_e64 v107, s2, s7, v25, s2
	v_add_co_u32 v117, s2, v106, s6
	;; [unrolled: 4-line block ×5, first 2 shown]
	s_wait_alu 0xf1ff
	s_delay_alu instid0(VALU_DEP_2)
	v_add_co_ci_u32_e64 v138, s2, s7, v107, s2
	global_load_b128 v[121:124], v[24:25], off
	global_load_b128 v[125:128], v[106:107], off
	s_clause 0x1
	global_load_b128 v[129:132], v220, s[8:9] offset:1568
	global_load_b128 v[133:136], v220, s[8:9] offset:1680
	global_load_b128 v[137:140], v[137:138], off
	s_wait_loadcnt 0x11
	v_mul_f64_e32 v[141:142], v[68:69], v[60:61]
	s_wait_loadcnt 0x10
	v_mul_f64_e32 v[24:25], v[72:73], v[6:7]
	v_mul_f64_e32 v[6:7], v[70:71], v[6:7]
	;; [unrolled: 1-line block ×4, first 2 shown]
	s_wait_loadcnt 0xf
	v_mul_f64_e32 v[143:144], v[76:77], v[2:3]
	v_mul_f64_e32 v[145:146], v[74:75], v[2:3]
	s_wait_loadcnt 0xe
	v_mul_f64_e32 v[147:148], v[80:81], v[14:15]
	v_mul_f64_e32 v[14:15], v[78:79], v[14:15]
	;; [unrolled: 3-line block ×6, first 2 shown]
	v_mul_f64_e32 v[161:162], v[100:101], v[32:33]
	v_mul_f64_e32 v[163:164], v[98:99], v[32:33]
	;; [unrolled: 1-line block ×3, first 2 shown]
	s_wait_loadcnt 0x8
	v_mul_f64_e32 v[165:166], v[104:105], v[40:41]
	v_mul_f64_e32 v[40:41], v[102:103], v[40:41]
	s_wait_loadcnt 0x7
	v_mul_f64_e32 v[167:168], v[111:112], v[44:45]
	v_mul_f64_e32 v[44:45], v[109:110], v[44:45]
	;; [unrolled: 3-line block ×7, first 2 shown]
	v_fma_f64 v[2:3], v[70:71], v[4:5], v[24:25]
	v_fma_f64 v[4:5], v[72:73], v[4:5], -v[6:7]
	v_fma_f64 v[22:23], v[62:63], v[34:35], v[106:107]
	v_fma_f64 v[24:25], v[64:65], v[34:35], -v[36:37]
	;; [unrolled: 2-line block ×7, first 2 shown]
	v_fma_f64 v[6:7], v[66:67], v[58:59], v[141:142]
	v_fma_f64 v[64:65], v[94:95], v[26:27], v[159:160]
	v_fma_f64 v[66:67], v[96:97], v[26:27], -v[28:29]
	v_fma_f64 v[26:27], v[98:99], v[30:31], v[161:162]
	v_fma_f64 v[28:29], v[100:101], v[30:31], -v[163:164]
	;; [unrolled: 2-line block ×5, first 2 shown]
	v_fma_f64 v[8:9], v[68:69], v[58:59], -v[179:180]
	v_lshlrev_b32_e32 v1, 4, v211
	v_fma_f64 v[48:49], v[117:118], v[50:51], v[171:172]
	v_fma_f64 v[50:51], v[119:120], v[50:51], -v[52:53]
	s_delay_alu instid0(VALU_DEP_3)
	v_lshl_add_u32 v0, v255, 4, v1
	v_fma_f64 v[52:53], v[121:122], v[54:55], v[173:174]
	v_fma_f64 v[54:55], v[123:124], v[54:55], -v[56:57]
	v_fma_f64 v[70:71], v[125:126], v[129:130], v[175:176]
	v_fma_f64 v[72:73], v[127:128], v[129:130], -v[131:132]
	v_fma_f64 v[74:75], v[137:138], v[133:134], v[177:178]
	v_fma_f64 v[76:77], v[139:140], v[133:134], -v[135:136]
	v_add_nc_u32_e32 v1, v1, v220
	ds_store_b128 v0, v[2:5]
	ds_store_b128 v1, v[32:35] offset:112
	ds_store_b128 v1, v[10:13] offset:224
	;; [unrolled: 1-line block ×16, first 2 shown]
.LBB0_3:
	s_or_b32 exec_lo, exec_lo, s3
	s_clause 0x1
	s_load_b64 s[2:3], s[0:1], 0x20
	s_load_b64 s[4:5], s[0:1], 0x8
	global_wb scope:SCOPE_SE
	s_wait_storecnt_dscnt 0x0
	s_wait_kmcnt 0x0
	s_barrier_signal -1
	s_barrier_wait -1
	global_inv scope:SCOPE_SE
                                        ; implicit-def: $vgpr78_vgpr79
                                        ; implicit-def: $vgpr74_vgpr75
                                        ; implicit-def: $vgpr70_vgpr71
                                        ; implicit-def: $vgpr66_vgpr67
                                        ; implicit-def: $vgpr26_vgpr27
                                        ; implicit-def: $vgpr84_vgpr85
                                        ; implicit-def: $vgpr88_vgpr89
                                        ; implicit-def: $vgpr96_vgpr97
                                        ; implicit-def: $vgpr100_vgpr101
                                        ; implicit-def: $vgpr104_vgpr105
                                        ; implicit-def: $vgpr92_vgpr93
                                        ; implicit-def: $vgpr60_vgpr61
                                        ; implicit-def: $vgpr52_vgpr53
                                        ; implicit-def: $vgpr48_vgpr49
                                        ; implicit-def: $vgpr44_vgpr45
                                        ; implicit-def: $vgpr40_vgpr41
                                        ; implicit-def: $vgpr36_vgpr37
	s_and_saveexec_b32 s0, vcc_lo
	s_cbranch_execz .LBB0_5
; %bb.4:
	v_lshl_add_u32 v0, v211, 4, v220
	ds_load_b128 v[24:27], v0
	ds_load_b128 v[64:67], v0 offset:112
	ds_load_b128 v[68:71], v0 offset:224
	;; [unrolled: 1-line block ×16, first 2 shown]
.LBB0_5:
	s_wait_alu 0xfffe
	s_or_b32 exec_lo, exec_lo, s0
	s_wait_dscnt 0x0
	v_add_f64_e64 v[2:3], v[66:67], -v[38:39]
	s_mov_b32 s40, 0x5d8e7cdc
	s_mov_b32 s41, 0xbfd71e95
	v_add_f64_e32 v[113:114], v[64:65], v[36:37]
	v_add_f64_e64 v[0:1], v[64:65], -v[36:37]
	v_add_f64_e64 v[119:120], v[70:71], -v[42:43]
	s_mov_b32 s0, 0x370991
	s_mov_b32 s46, 0x2a9d6da3
	;; [unrolled: 1-line block ×4, first 2 shown]
	v_add_f64_e32 v[115:116], v[66:67], v[38:39]
	v_add_f64_e32 v[109:110], v[68:69], v[40:41]
	v_add_f64_e64 v[117:118], v[68:69], -v[40:41]
	s_mov_b32 s6, 0x75d4884
	s_mov_b32 s7, 0x3fe7a5f6
	v_add_f64_e32 v[111:112], v[70:71], v[42:43]
	s_mov_b32 s44, 0xeb564b22
	s_mov_b32 s45, 0xbfefdd0d
	s_mov_b32 s14, 0x3259b75e
	s_mov_b32 s15, 0x3fb79ee6
	s_mov_b32 s36, 0x7c9e640b
	s_mov_b32 s37, 0xbfeca52d
	s_mov_b32 s10, 0x2b2883cd
	s_mov_b32 s26, 0x6c9a05f6
	s_mov_b32 s11, 0x3fdc86fa
	s_mov_b32 s27, 0xbfe9895b
	s_mov_b32 s18, 0x6ed5f1bb
	s_mov_b32 s19, 0xbfe348c8
	s_mov_b32 s34, 0xacd6c6b4
	s_mov_b32 s35, 0xbfc7851a
	s_mov_b32 s22, 0x7faef3
	s_mov_b32 s23, 0xbfef7484
	s_mov_b32 s24, 0x923c349f
	s_mov_b32 s25, 0xbfeec746
	s_mov_b32 s16, 0xc61f0d01
	s_mov_b32 s30, 0x4363dd80
	s_mov_b32 s17, 0xbfd183b1
	s_mov_b32 s31, 0xbfe0d888
	v_mul_f64_e32 v[4:5], s[40:41], v[2:3]
	v_mul_f64_e32 v[8:9], s[46:47], v[2:3]
	;; [unrolled: 1-line block ×10, first 2 shown]
	s_mov_b32 s51, 0x3fe0d888
	s_mov_b32 s50, s30
	v_mul_f64_e32 v[123:124], s[46:47], v[117:118]
	v_mul_f64_e32 v[22:23], s[24:25], v[0:1]
	s_mov_b32 s20, 0x910ea3b9
	s_mov_b32 s21, 0xbfeb34fa
	v_mul_f64_e32 v[28:29], s[26:27], v[2:3]
	s_mov_b32 s49, 0x3feec746
	s_mov_b32 s48, s24
	v_mul_f64_e32 v[30:31], s[26:27], v[0:1]
	v_mul_f64_e32 v[32:33], s[30:31], v[2:3]
	s_mov_b32 s29, 0x3feca52d
	s_mov_b32 s28, s36
	v_mul_f64_e32 v[56:57], s[30:31], v[0:1]
	;; [unrolled: 4-line block ×3, first 2 shown]
	v_add_f64_e32 v[145:146], v[72:73], v[44:45]
	v_add_f64_e32 v[149:150], v[74:75], v[46:47]
	s_mov_b32 s39, 0x3fc7851a
	s_mov_b32 s38, s34
	v_add_f64_e32 v[173:174], v[76:77], v[48:49]
	v_add_f64_e32 v[177:178], v[78:79], v[50:51]
	s_mov_b32 s53, 0x3fe9895b
	s_mov_b32 s52, s26
	v_add_f64_e32 v[201:202], v[84:85], v[52:53]
	v_add_f64_e32 v[203:204], v[86:87], v[54:55]
	scratch_store_b64 off, v[4:5], off offset:4 ; 8-byte Folded Spill
	s_wait_alu 0xfffe
	v_fma_f64 v[4:5], v[113:114], s[0:1], v[4:5]
	scratch_store_b64 off, v[8:9], off offset:28 ; 8-byte Folded Spill
	v_fma_f64 v[8:9], v[113:114], s[6:7], v[8:9]
	scratch_store_b64 off, v[6:7], off offset:12 ; 8-byte Folded Spill
	v_fma_f64 v[6:7], v[115:116], s[0:1], -v[6:7]
	scratch_store_b64 off, v[121:122], off offset:132 ; 8-byte Folded Spill
	v_fma_f64 v[121:122], v[109:110], s[6:7], v[121:122]
	scratch_store_b64 off, v[10:11], off offset:44 ; 8-byte Folded Spill
	v_fma_f64 v[10:11], v[115:116], s[6:7], -v[10:11]
	s_clause 0x3
	scratch_store_b64 off, v[12:13], off offset:60
	scratch_store_b64 off, v[14:15], off offset:68
	;; [unrolled: 1-line block ×4, first 2 shown]
	v_fma_f64 v[12:13], v[113:114], s[10:11], v[12:13]
	v_fma_f64 v[14:15], v[115:116], s[10:11], -v[14:15]
	v_fma_f64 v[16:17], v[113:114], s[14:15], v[16:17]
	v_fma_f64 v[18:19], v[115:116], s[14:15], -v[18:19]
	s_clause 0x3
	scratch_store_b64 off, v[20:21], off offset:92
	scratch_store_b64 off, v[22:23], off offset:108
	;; [unrolled: 1-line block ×4, first 2 shown]
	v_fma_f64 v[20:21], v[113:114], s[16:17], v[20:21]
	v_fma_f64 v[22:23], v[115:116], s[16:17], -v[22:23]
	v_fma_f64 v[28:29], v[113:114], s[18:19], v[28:29]
	v_fma_f64 v[30:31], v[115:116], s[18:19], -v[30:31]
	v_fma_f64 v[34:35], v[113:114], s[20:21], -v[32:33]
	v_fma_f64 v[32:33], v[113:114], s[20:21], v[32:33]
	v_fma_f64 v[58:59], v[115:116], s[20:21], v[56:57]
	v_fma_f64 v[56:57], v[115:116], s[20:21], -v[56:57]
	v_fma_f64 v[80:81], v[113:114], s[22:23], -v[2:3]
	v_fma_f64 v[2:3], v[113:114], s[22:23], v[2:3]
	v_fma_f64 v[82:83], v[115:116], s[22:23], v[0:1]
	v_fma_f64 v[0:1], v[115:116], s[22:23], -v[0:1]
	v_add_f64_e32 v[229:230], v[88:89], v[60:61]
	v_add_f64_e32 v[231:232], v[90:91], v[62:63]
	v_add_f64_e64 v[153:154], v[98:99], -v[94:95]
	v_add_f64_e64 v[209:210], v[102:103], -v[106:107]
	;; [unrolled: 1-line block ×3, first 2 shown]
	v_add_f64_e32 v[4:5], v[24:25], v[4:5]
	v_add_f64_e32 v[8:9], v[24:25], v[8:9]
	;; [unrolled: 1-line block ×20, first 2 shown]
	v_mul_f64_e32 v[167:168], s[28:29], v[153:154]
	v_mul_f64_e32 v[163:164], s[44:45], v[153:154]
	;; [unrolled: 1-line block ×3, first 2 shown]
	v_add_f64_e32 v[4:5], v[121:122], v[4:5]
	v_fma_f64 v[121:122], v[111:112], s[6:7], -v[123:124]
	v_mul_f64_e32 v[171:172], s[34:35], v[153:154]
	v_mul_f64_e32 v[181:182], s[34:35], v[199:200]
	;; [unrolled: 1-line block ×6, first 2 shown]
	v_add_f64_e32 v[6:7], v[121:122], v[6:7]
	v_mul_f64_e32 v[121:122], s[44:45], v[119:120]
	scratch_store_b64 off, v[123:124], off offset:140 ; 8-byte Folded Spill
	v_mul_f64_e32 v[123:124], s[44:45], v[117:118]
	scratch_store_b64 off, v[121:122], off offset:196 ; 8-byte Folded Spill
	v_fma_f64 v[121:122], v[109:110], s[14:15], v[121:122]
	scratch_store_b64 off, v[123:124], off offset:204 ; 8-byte Folded Spill
	v_add_f64_e32 v[8:9], v[121:122], v[8:9]
	v_fma_f64 v[121:122], v[111:112], s[14:15], -v[123:124]
	v_mul_f64_e32 v[123:124], s[26:27], v[117:118]
	s_delay_alu instid0(VALU_DEP_2)
	v_add_f64_e32 v[10:11], v[121:122], v[10:11]
	v_mul_f64_e32 v[121:122], s[26:27], v[119:120]
	s_clause 0x1
	scratch_store_b64 off, v[123:124], off offset:188
	scratch_store_b64 off, v[121:122], off offset:180
	v_fma_f64 v[121:122], v[109:110], s[18:19], v[121:122]
	s_delay_alu instid0(VALU_DEP_1) | instskip(SKIP_2) | instid1(VALU_DEP_2)
	v_add_f64_e32 v[12:13], v[121:122], v[12:13]
	v_fma_f64 v[121:122], v[111:112], s[18:19], -v[123:124]
	v_mul_f64_e32 v[123:124], s[34:35], v[117:118]
	v_add_f64_e32 v[14:15], v[121:122], v[14:15]
	v_mul_f64_e32 v[121:122], s[34:35], v[119:120]
	s_clause 0x1
	scratch_store_b64 off, v[123:124], off offset:172
	scratch_store_b64 off, v[121:122], off offset:164
	v_fma_f64 v[121:122], v[109:110], s[22:23], v[121:122]
	s_delay_alu instid0(VALU_DEP_1) | instskip(SKIP_2) | instid1(VALU_DEP_2)
	v_add_f64_e32 v[16:17], v[121:122], v[16:17]
	v_fma_f64 v[121:122], v[111:112], s[22:23], -v[123:124]
	v_mul_f64_e32 v[123:124], s[50:51], v[117:118]
	v_add_f64_e32 v[18:19], v[121:122], v[18:19]
	v_mul_f64_e32 v[121:122], s[50:51], v[119:120]
	scratch_store_b64 off, v[121:122], off offset:148 ; 8-byte Folded Spill
	v_fma_f64 v[121:122], v[109:110], s[20:21], v[121:122]
	s_delay_alu instid0(VALU_DEP_1) | instskip(SKIP_1) | instid1(VALU_DEP_1)
	v_add_f64_e32 v[20:21], v[121:122], v[20:21]
	v_fma_f64 v[121:122], v[111:112], s[20:21], -v[123:124]
	v_add_f64_e32 v[22:23], v[121:122], v[22:23]
	v_mul_f64_e32 v[121:122], s[48:49], v[119:120]
	scratch_store_b64 off, v[123:124], off offset:156 ; 8-byte Folded Spill
	v_mul_f64_e32 v[123:124], s[48:49], v[117:118]
	scratch_store_b64 off, v[121:122], off offset:212 ; 8-byte Folded Spill
	v_fma_f64 v[121:122], v[109:110], s[16:17], v[121:122]
	scratch_store_b64 off, v[123:124], off offset:220 ; 8-byte Folded Spill
	v_add_f64_e32 v[28:29], v[121:122], v[28:29]
	v_fma_f64 v[121:122], v[111:112], s[16:17], -v[123:124]
	s_delay_alu instid0(VALU_DEP_1) | instskip(SKIP_2) | instid1(VALU_DEP_2)
	v_add_f64_e32 v[30:31], v[121:122], v[30:31]
	v_mul_f64_e32 v[121:122], s[28:29], v[119:120]
	v_mul_f64_e32 v[119:120], s[42:43], v[119:120]
	v_fma_f64 v[123:124], v[109:110], s[10:11], -v[121:122]
	v_fma_f64 v[121:122], v[109:110], s[10:11], v[121:122]
	s_delay_alu instid0(VALU_DEP_2) | instskip(SKIP_1) | instid1(VALU_DEP_3)
	v_add_f64_e32 v[34:35], v[123:124], v[34:35]
	v_mul_f64_e32 v[123:124], s[28:29], v[117:118]
	v_add_f64_e32 v[32:33], v[121:122], v[32:33]
	v_mul_f64_e32 v[117:118], s[42:43], v[117:118]
	s_delay_alu instid0(VALU_DEP_3) | instskip(SKIP_1) | instid1(VALU_DEP_2)
	v_fma_f64 v[121:122], v[111:112], s[10:11], -v[123:124]
	v_fma_f64 v[125:126], v[111:112], s[10:11], v[123:124]
	v_add_f64_e32 v[56:57], v[121:122], v[56:57]
	v_fma_f64 v[121:122], v[109:110], s[0:1], -v[119:120]
	v_fma_f64 v[119:120], v[109:110], s[0:1], v[119:120]
	s_delay_alu instid0(VALU_DEP_4) | instskip(NEXT) | instid1(VALU_DEP_3)
	v_add_f64_e32 v[58:59], v[125:126], v[58:59]
	v_add_f64_e32 v[80:81], v[121:122], v[80:81]
	v_fma_f64 v[121:122], v[111:112], s[0:1], v[117:118]
	s_delay_alu instid0(VALU_DEP_4) | instskip(SKIP_2) | instid1(VALU_DEP_4)
	v_add_f64_e32 v[2:3], v[119:120], v[2:3]
	v_fma_f64 v[117:118], v[111:112], s[0:1], -v[117:118]
	v_add_f64_e64 v[119:120], v[74:75], -v[46:47]
	v_add_f64_e32 v[82:83], v[121:122], v[82:83]
	s_delay_alu instid0(VALU_DEP_3) | instskip(SKIP_1) | instid1(VALU_DEP_4)
	v_add_f64_e32 v[0:1], v[117:118], v[0:1]
	v_add_f64_e64 v[117:118], v[72:73], -v[44:45]
	v_mul_f64_e32 v[121:122], s[36:37], v[119:120]
	s_delay_alu instid0(VALU_DEP_2) | instskip(SKIP_2) | instid1(VALU_DEP_1)
	v_mul_f64_e32 v[123:124], s[36:37], v[117:118]
	scratch_store_b64 off, v[121:122], off offset:228 ; 8-byte Folded Spill
	v_fma_f64 v[121:122], v[145:146], s[10:11], v[121:122]
	v_add_f64_e32 v[4:5], v[121:122], v[4:5]
	v_fma_f64 v[121:122], v[149:150], s[10:11], -v[123:124]
	s_delay_alu instid0(VALU_DEP_1)
	v_add_f64_e32 v[6:7], v[121:122], v[6:7]
	v_mul_f64_e32 v[121:122], s[26:27], v[119:120]
	scratch_store_b64 off, v[123:124], off offset:236 ; 8-byte Folded Spill
	v_mul_f64_e32 v[123:124], s[26:27], v[117:118]
	scratch_store_b64 off, v[121:122], off offset:292 ; 8-byte Folded Spill
	v_fma_f64 v[121:122], v[145:146], s[18:19], v[121:122]
	scratch_store_b64 off, v[123:124], off offset:300 ; 8-byte Folded Spill
	v_add_f64_e32 v[8:9], v[121:122], v[8:9]
	v_fma_f64 v[121:122], v[149:150], s[18:19], -v[123:124]
	v_mul_f64_e32 v[123:124], s[38:39], v[117:118]
	s_delay_alu instid0(VALU_DEP_2)
	v_add_f64_e32 v[10:11], v[121:122], v[10:11]
	v_mul_f64_e32 v[121:122], s[38:39], v[119:120]
	s_mov_b32 s39, 0x3fe58eea
	s_mov_b32 s38, s46
	scratch_store_b64 off, v[123:124], off offset:284 ; 8-byte Folded Spill
	s_wait_alu 0xfffe
	v_mul_f64_e32 v[175:176], s[38:39], v[153:154]
	v_mul_f64_e32 v[193:194], s[38:39], v[199:200]
	scratch_store_b64 off, v[121:122], off offset:276 ; 8-byte Folded Spill
	v_fma_f64 v[121:122], v[145:146], s[22:23], v[121:122]
	s_delay_alu instid0(VALU_DEP_1) | instskip(SKIP_2) | instid1(VALU_DEP_2)
	v_add_f64_e32 v[12:13], v[121:122], v[12:13]
	v_fma_f64 v[121:122], v[149:150], s[22:23], -v[123:124]
	v_mul_f64_e32 v[123:124], s[48:49], v[117:118]
	v_add_f64_e32 v[14:15], v[121:122], v[14:15]
	v_mul_f64_e32 v[121:122], s[48:49], v[119:120]
	s_clause 0x1
	scratch_store_b64 off, v[123:124], off offset:268
	scratch_store_b64 off, v[121:122], off offset:260
	v_fma_f64 v[121:122], v[145:146], s[16:17], v[121:122]
	s_delay_alu instid0(VALU_DEP_1) | instskip(SKIP_2) | instid1(VALU_DEP_2)
	v_add_f64_e32 v[16:17], v[121:122], v[16:17]
	v_fma_f64 v[121:122], v[149:150], s[16:17], -v[123:124]
	v_mul_f64_e32 v[123:124], s[38:39], v[117:118]
	v_add_f64_e32 v[18:19], v[121:122], v[18:19]
	v_mul_f64_e32 v[121:122], s[38:39], v[119:120]
	scratch_store_b64 off, v[121:122], off offset:244 ; 8-byte Folded Spill
	v_fma_f64 v[121:122], v[145:146], s[6:7], v[121:122]
	s_delay_alu instid0(VALU_DEP_1) | instskip(SKIP_1) | instid1(VALU_DEP_1)
	v_add_f64_e32 v[20:21], v[121:122], v[20:21]
	v_fma_f64 v[121:122], v[149:150], s[6:7], -v[123:124]
	v_add_f64_e32 v[22:23], v[121:122], v[22:23]
	v_mul_f64_e32 v[121:122], s[40:41], v[119:120]
	scratch_store_b64 off, v[123:124], off offset:252 ; 8-byte Folded Spill
	v_mul_f64_e32 v[123:124], s[40:41], v[117:118]
	scratch_store_b64 off, v[121:122], off offset:308 ; 8-byte Folded Spill
	v_fma_f64 v[121:122], v[145:146], s[0:1], v[121:122]
	scratch_store_b64 off, v[123:124], off offset:316 ; 8-byte Folded Spill
	v_add_f64_e32 v[28:29], v[121:122], v[28:29]
	v_fma_f64 v[121:122], v[149:150], s[0:1], -v[123:124]
	s_delay_alu instid0(VALU_DEP_1) | instskip(SKIP_2) | instid1(VALU_DEP_2)
	v_add_f64_e32 v[30:31], v[121:122], v[30:31]
	v_mul_f64_e32 v[121:122], s[44:45], v[119:120]
	v_mul_f64_e32 v[119:120], s[30:31], v[119:120]
	v_fma_f64 v[123:124], v[145:146], s[14:15], -v[121:122]
	v_fma_f64 v[121:122], v[145:146], s[14:15], v[121:122]
	s_delay_alu instid0(VALU_DEP_2) | instskip(SKIP_1) | instid1(VALU_DEP_3)
	v_add_f64_e32 v[34:35], v[123:124], v[34:35]
	v_mul_f64_e32 v[123:124], s[44:45], v[117:118]
	v_add_f64_e32 v[32:33], v[121:122], v[32:33]
	v_mul_f64_e32 v[117:118], s[30:31], v[117:118]
	s_delay_alu instid0(VALU_DEP_3) | instskip(SKIP_1) | instid1(VALU_DEP_2)
	v_fma_f64 v[121:122], v[149:150], s[14:15], -v[123:124]
	v_fma_f64 v[125:126], v[149:150], s[14:15], v[123:124]
	v_add_f64_e32 v[56:57], v[121:122], v[56:57]
	v_fma_f64 v[121:122], v[145:146], s[20:21], -v[119:120]
	v_fma_f64 v[119:120], v[145:146], s[20:21], v[119:120]
	s_delay_alu instid0(VALU_DEP_4) | instskip(NEXT) | instid1(VALU_DEP_3)
	v_add_f64_e32 v[58:59], v[125:126], v[58:59]
	v_add_f64_e32 v[80:81], v[121:122], v[80:81]
	v_fma_f64 v[121:122], v[149:150], s[20:21], v[117:118]
	s_delay_alu instid0(VALU_DEP_4) | instskip(SKIP_2) | instid1(VALU_DEP_4)
	v_add_f64_e32 v[2:3], v[119:120], v[2:3]
	v_fma_f64 v[117:118], v[149:150], s[20:21], -v[117:118]
	v_add_f64_e64 v[119:120], v[78:79], -v[50:51]
	v_add_f64_e32 v[82:83], v[121:122], v[82:83]
	s_delay_alu instid0(VALU_DEP_3) | instskip(SKIP_1) | instid1(VALU_DEP_4)
	v_add_f64_e32 v[0:1], v[117:118], v[0:1]
	v_add_f64_e64 v[117:118], v[76:77], -v[48:49]
	v_mul_f64_e32 v[121:122], s[44:45], v[119:120]
	v_mul_f64_e32 v[221:222], s[30:31], v[119:120]
	s_delay_alu instid0(VALU_DEP_3) | instskip(SKIP_3) | instid1(VALU_DEP_2)
	v_mul_f64_e32 v[123:124], s[44:45], v[117:118]
	scratch_store_b64 off, v[121:122], off offset:324 ; 8-byte Folded Spill
	v_fma_f64 v[121:122], v[173:174], s[14:15], v[121:122]
	v_mul_f64_e32 v[227:228], s[30:31], v[117:118]
	v_add_f64_e32 v[4:5], v[121:122], v[4:5]
	v_fma_f64 v[121:122], v[177:178], s[14:15], -v[123:124]
	s_delay_alu instid0(VALU_DEP_1)
	v_add_f64_e32 v[6:7], v[121:122], v[6:7]
	v_mul_f64_e32 v[121:122], s[34:35], v[119:120]
	scratch_store_b64 off, v[123:124], off offset:332 ; 8-byte Folded Spill
	v_mul_f64_e32 v[123:124], s[34:35], v[117:118]
	scratch_store_b64 off, v[121:122], off offset:388 ; 8-byte Folded Spill
	v_fma_f64 v[121:122], v[173:174], s[22:23], v[121:122]
	scratch_store_b64 off, v[123:124], off offset:396 ; 8-byte Folded Spill
	v_add_f64_e32 v[8:9], v[121:122], v[8:9]
	v_fma_f64 v[121:122], v[177:178], s[22:23], -v[123:124]
	v_mul_f64_e32 v[123:124], s[48:49], v[117:118]
	s_delay_alu instid0(VALU_DEP_2)
	v_add_f64_e32 v[10:11], v[121:122], v[10:11]
	v_mul_f64_e32 v[121:122], s[48:49], v[119:120]
	s_clause 0x1
	scratch_store_b64 off, v[123:124], off offset:380
	scratch_store_b64 off, v[121:122], off offset:372
	v_fma_f64 v[121:122], v[173:174], s[16:17], v[121:122]
	s_delay_alu instid0(VALU_DEP_1) | instskip(SKIP_2) | instid1(VALU_DEP_2)
	v_add_f64_e32 v[12:13], v[121:122], v[12:13]
	v_fma_f64 v[121:122], v[177:178], s[16:17], -v[123:124]
	v_mul_f64_e32 v[123:124], s[42:43], v[117:118]
	v_add_f64_e32 v[14:15], v[121:122], v[14:15]
	v_mul_f64_e32 v[121:122], s[42:43], v[119:120]
	s_clause 0x1
	scratch_store_b64 off, v[123:124], off offset:364
	scratch_store_b64 off, v[121:122], off offset:356
	v_fma_f64 v[121:122], v[173:174], s[0:1], v[121:122]
	s_delay_alu instid0(VALU_DEP_1) | instskip(SKIP_2) | instid1(VALU_DEP_2)
	v_add_f64_e32 v[16:17], v[121:122], v[16:17]
	v_fma_f64 v[121:122], v[177:178], s[0:1], -v[123:124]
	v_mul_f64_e32 v[123:124], s[36:37], v[117:118]
	v_add_f64_e32 v[18:19], v[121:122], v[18:19]
	v_mul_f64_e32 v[121:122], s[36:37], v[119:120]
	s_clause 0x1
	scratch_store_b64 off, v[123:124], off offset:348
	scratch_store_b64 off, v[121:122], off offset:340
	v_fma_f64 v[121:122], v[173:174], s[10:11], v[121:122]
	global_wb scope:SCOPE_SE
	s_wait_storecnt 0x0
	s_barrier_signal -1
	s_barrier_wait -1
	global_inv scope:SCOPE_SE
	v_add_f64_e32 v[20:21], v[121:122], v[20:21]
	v_fma_f64 v[121:122], v[177:178], s[10:11], -v[123:124]
	s_delay_alu instid0(VALU_DEP_1) | instskip(SKIP_1) | instid1(VALU_DEP_1)
	v_add_f64_e32 v[22:23], v[121:122], v[22:23]
	v_fma_f64 v[121:122], v[173:174], s[20:21], v[221:222]
	v_add_f64_e32 v[28:29], v[121:122], v[28:29]
	v_fma_f64 v[121:122], v[177:178], s[20:21], -v[227:228]
	s_delay_alu instid0(VALU_DEP_1) | instskip(SKIP_2) | instid1(VALU_DEP_2)
	v_add_f64_e32 v[30:31], v[121:122], v[30:31]
	v_mul_f64_e32 v[121:122], s[52:53], v[119:120]
	v_mul_f64_e32 v[119:120], s[38:39], v[119:120]
	v_fma_f64 v[123:124], v[173:174], s[18:19], -v[121:122]
	v_fma_f64 v[121:122], v[173:174], s[18:19], v[121:122]
	s_delay_alu instid0(VALU_DEP_2) | instskip(SKIP_1) | instid1(VALU_DEP_3)
	v_add_f64_e32 v[34:35], v[123:124], v[34:35]
	v_mul_f64_e32 v[123:124], s[52:53], v[117:118]
	v_add_f64_e32 v[32:33], v[121:122], v[32:33]
	v_mul_f64_e32 v[117:118], s[38:39], v[117:118]
	s_delay_alu instid0(VALU_DEP_3) | instskip(SKIP_1) | instid1(VALU_DEP_2)
	v_fma_f64 v[121:122], v[177:178], s[18:19], -v[123:124]
	v_fma_f64 v[125:126], v[177:178], s[18:19], v[123:124]
	v_add_f64_e32 v[56:57], v[121:122], v[56:57]
	v_fma_f64 v[121:122], v[173:174], s[6:7], -v[119:120]
	v_fma_f64 v[119:120], v[173:174], s[6:7], v[119:120]
	s_delay_alu instid0(VALU_DEP_4) | instskip(NEXT) | instid1(VALU_DEP_3)
	v_add_f64_e32 v[58:59], v[125:126], v[58:59]
	v_add_f64_e32 v[80:81], v[121:122], v[80:81]
	v_fma_f64 v[121:122], v[177:178], s[6:7], v[117:118]
	s_delay_alu instid0(VALU_DEP_4) | instskip(SKIP_2) | instid1(VALU_DEP_4)
	v_add_f64_e32 v[2:3], v[119:120], v[2:3]
	v_fma_f64 v[117:118], v[177:178], s[6:7], -v[117:118]
	v_add_f64_e64 v[119:120], v[86:87], -v[54:55]
	v_add_f64_e32 v[82:83], v[121:122], v[82:83]
	s_delay_alu instid0(VALU_DEP_3) | instskip(SKIP_1) | instid1(VALU_DEP_4)
	v_add_f64_e32 v[0:1], v[117:118], v[0:1]
	v_add_f64_e64 v[117:118], v[84:85], -v[52:53]
	v_mul_f64_e32 v[223:224], s[24:25], v[119:120]
	v_mul_f64_e32 v[245:246], s[50:51], v[119:120]
	;; [unrolled: 1-line block ×6, first 2 shown]
	v_fma_f64 v[121:122], v[201:202], s[16:17], v[223:224]
	v_mul_f64_e32 v[247:248], s[50:51], v[117:118]
	v_mul_f64_e32 v[243:244], s[38:39], v[117:118]
	;; [unrolled: 1-line block ×4, first 2 shown]
	s_mov_b32 s37, 0x3fefdd0d
	s_mov_b32 s36, s44
	s_wait_alu 0xfffe
	v_mul_f64_e32 v[249:250], s[36:37], v[119:120]
	v_mul_f64_e32 v[218:219], s[36:37], v[117:118]
	v_add_f64_e32 v[4:5], v[121:122], v[4:5]
	v_fma_f64 v[121:122], v[203:204], s[16:17], -v[225:226]
	s_delay_alu instid0(VALU_DEP_1) | instskip(SKIP_1) | instid1(VALU_DEP_1)
	v_add_f64_e32 v[6:7], v[121:122], v[6:7]
	v_fma_f64 v[121:122], v[201:202], s[20:21], v[245:246]
	v_add_f64_e32 v[8:9], v[121:122], v[8:9]
	v_fma_f64 v[121:122], v[203:204], s[20:21], -v[247:248]
	s_delay_alu instid0(VALU_DEP_1) | instskip(SKIP_1) | instid1(VALU_DEP_1)
	v_add_f64_e32 v[10:11], v[121:122], v[10:11]
	v_fma_f64 v[121:122], v[201:202], s[6:7], v[241:242]
	;; [unrolled: 5-line block ×5, first 2 shown]
	v_add_f64_e32 v[28:29], v[121:122], v[28:29]
	v_fma_f64 v[121:122], v[203:204], s[14:15], -v[218:219]
	s_delay_alu instid0(VALU_DEP_1) | instskip(SKIP_2) | instid1(VALU_DEP_2)
	v_add_f64_e32 v[30:31], v[121:122], v[30:31]
	v_mul_f64_e32 v[121:122], s[40:41], v[119:120]
	v_mul_f64_e32 v[119:120], s[26:27], v[119:120]
	v_fma_f64 v[123:124], v[201:202], s[0:1], -v[121:122]
	v_fma_f64 v[121:122], v[201:202], s[0:1], v[121:122]
	s_delay_alu instid0(VALU_DEP_2) | instskip(SKIP_1) | instid1(VALU_DEP_3)
	v_add_f64_e32 v[34:35], v[123:124], v[34:35]
	v_mul_f64_e32 v[123:124], s[40:41], v[117:118]
	v_add_f64_e32 v[32:33], v[121:122], v[32:33]
	v_mul_f64_e32 v[117:118], s[26:27], v[117:118]
	s_delay_alu instid0(VALU_DEP_3) | instskip(SKIP_1) | instid1(VALU_DEP_2)
	v_fma_f64 v[121:122], v[203:204], s[0:1], -v[123:124]
	v_fma_f64 v[125:126], v[203:204], s[0:1], v[123:124]
	v_add_f64_e32 v[56:57], v[121:122], v[56:57]
	v_fma_f64 v[121:122], v[201:202], s[18:19], -v[119:120]
	v_fma_f64 v[119:120], v[201:202], s[18:19], v[119:120]
	s_delay_alu instid0(VALU_DEP_4) | instskip(NEXT) | instid1(VALU_DEP_3)
	v_add_f64_e32 v[58:59], v[125:126], v[58:59]
	v_add_f64_e32 v[80:81], v[121:122], v[80:81]
	v_fma_f64 v[121:122], v[203:204], s[18:19], v[117:118]
	s_delay_alu instid0(VALU_DEP_4) | instskip(SKIP_2) | instid1(VALU_DEP_4)
	v_add_f64_e32 v[2:3], v[119:120], v[2:3]
	v_fma_f64 v[117:118], v[203:204], s[18:19], -v[117:118]
	v_add_f64_e64 v[119:120], v[88:89], -v[60:61]
	v_add_f64_e32 v[82:83], v[121:122], v[82:83]
	v_add_f64_e64 v[121:122], v[90:91], -v[62:63]
	s_delay_alu instid0(VALU_DEP_4) | instskip(NEXT) | instid1(VALU_DEP_4)
	v_add_f64_e32 v[0:1], v[117:118], v[0:1]
	v_mul_f64_e32 v[117:118], s[26:27], v[119:120]
	v_mul_f64_e32 v[137:138], s[48:49], v[119:120]
	v_mul_f64_e32 v[133:134], s[40:41], v[119:120]
	v_mul_f64_e32 v[129:130], s[30:31], v[119:120]
	v_mul_f64_e32 v[125:126], s[36:37], v[119:120]
	v_mul_f64_e32 v[147:148], s[46:47], v[119:120]
	v_mul_f64_e32 v[251:252], s[26:27], v[121:122]
	v_mul_f64_e32 v[135:136], s[48:49], v[121:122]
	v_mul_f64_e32 v[131:132], s[40:41], v[121:122]
	v_mul_f64_e32 v[127:128], s[30:31], v[121:122]
	v_mul_f64_e32 v[143:144], s[46:47], v[121:122]
	v_fma_f64 v[123:124], v[229:230], s[18:19], v[251:252]
	s_delay_alu instid0(VALU_DEP_1) | instskip(SKIP_1) | instid1(VALU_DEP_1)
	v_add_f64_e32 v[4:5], v[123:124], v[4:5]
	v_fma_f64 v[123:124], v[231:232], s[18:19], -v[117:118]
	v_add_f64_e32 v[6:7], v[123:124], v[6:7]
	v_fma_f64 v[123:124], v[229:230], s[16:17], v[135:136]
	s_delay_alu instid0(VALU_DEP_1) | instskip(SKIP_1) | instid1(VALU_DEP_1)
	v_add_f64_e32 v[8:9], v[123:124], v[8:9]
	v_fma_f64 v[123:124], v[231:232], s[16:17], -v[137:138]
	v_add_f64_e32 v[10:11], v[123:124], v[10:11]
	;; [unrolled: 5-line block ×4, first 2 shown]
	v_mul_f64_e32 v[123:124], s[36:37], v[121:122]
	s_delay_alu instid0(VALU_DEP_1) | instskip(NEXT) | instid1(VALU_DEP_1)
	v_fma_f64 v[139:140], v[229:230], s[14:15], v[123:124]
	v_add_f64_e32 v[20:21], v[139:140], v[20:21]
	v_fma_f64 v[139:140], v[231:232], s[14:15], -v[125:126]
	s_delay_alu instid0(VALU_DEP_1) | instskip(SKIP_1) | instid1(VALU_DEP_1)
	v_add_f64_e32 v[22:23], v[139:140], v[22:23]
	v_fma_f64 v[139:140], v[229:230], s[6:7], v[143:144]
	v_add_f64_e32 v[28:29], v[139:140], v[28:29]
	v_fma_f64 v[139:140], v[231:232], s[6:7], -v[147:148]
	s_delay_alu instid0(VALU_DEP_1) | instskip(SKIP_2) | instid1(VALU_DEP_2)
	v_add_f64_e32 v[30:31], v[139:140], v[30:31]
	v_mul_f64_e32 v[139:140], s[34:35], v[121:122]
	v_mul_f64_e32 v[121:122], s[28:29], v[121:122]
	v_fma_f64 v[141:142], v[229:230], s[22:23], -v[139:140]
	v_fma_f64 v[139:140], v[229:230], s[22:23], v[139:140]
	s_delay_alu instid0(VALU_DEP_2) | instskip(SKIP_1) | instid1(VALU_DEP_3)
	v_add_f64_e32 v[34:35], v[141:142], v[34:35]
	v_mul_f64_e32 v[141:142], s[34:35], v[119:120]
	v_add_f64_e32 v[32:33], v[139:140], v[32:33]
	v_mul_f64_e32 v[119:120], s[28:29], v[119:120]
	s_delay_alu instid0(VALU_DEP_3) | instskip(SKIP_1) | instid1(VALU_DEP_2)
	v_fma_f64 v[139:140], v[231:232], s[22:23], -v[141:142]
	v_fma_f64 v[151:152], v[231:232], s[22:23], v[141:142]
	v_add_f64_e32 v[56:57], v[139:140], v[56:57]
	v_fma_f64 v[139:140], v[229:230], s[10:11], -v[121:122]
	s_delay_alu instid0(VALU_DEP_3) | instskip(SKIP_2) | instid1(VALU_DEP_4)
	v_add_f64_e32 v[58:59], v[151:152], v[58:59]
	v_fma_f64 v[121:122], v[229:230], s[10:11], v[121:122]
	v_add_f64_e64 v[151:152], v[96:97], -v[92:93]
	v_add_f64_e32 v[80:81], v[139:140], v[80:81]
	v_fma_f64 v[139:140], v[231:232], s[10:11], v[119:120]
	v_fma_f64 v[119:120], v[231:232], s[10:11], -v[119:120]
	v_add_f64_e32 v[2:3], v[121:122], v[2:3]
	v_add_f64_e32 v[121:122], v[98:99], v[94:95]
	v_mul_f64_e32 v[141:142], s[30:31], v[151:152]
	v_mul_f64_e32 v[169:170], s[28:29], v[151:152]
	;; [unrolled: 1-line block ×6, first 2 shown]
	v_add_f64_e32 v[82:83], v[139:140], v[82:83]
	v_add_f64_e32 v[0:1], v[119:120], v[0:1]
	v_add_f64_e32 v[119:120], v[96:97], v[92:93]
	v_mul_f64_e32 v[139:140], s[30:31], v[153:154]
	s_delay_alu instid0(VALU_DEP_1) | instskip(NEXT) | instid1(VALU_DEP_1)
	v_fma_f64 v[155:156], v[119:120], s[20:21], v[139:140]
	v_add_f64_e32 v[4:5], v[155:156], v[4:5]
	v_fma_f64 v[155:156], v[121:122], s[20:21], -v[141:142]
	s_delay_alu instid0(VALU_DEP_1) | instskip(SKIP_1) | instid1(VALU_DEP_1)
	v_add_f64_e32 v[6:7], v[155:156], v[6:7]
	v_fma_f64 v[155:156], v[119:120], s[10:11], v[167:168]
	v_add_f64_e32 v[187:188], v[155:156], v[8:9]
	v_fma_f64 v[8:9], v[121:122], s[10:11], -v[169:170]
	v_mul_f64_e32 v[155:156], s[40:41], v[153:154]
	v_mul_f64_e32 v[153:154], s[24:25], v[153:154]
	s_delay_alu instid0(VALU_DEP_3) | instskip(SKIP_2) | instid1(VALU_DEP_2)
	v_add_f64_e32 v[189:190], v[8:9], v[10:11]
	v_fma_f64 v[8:9], v[119:120], s[14:15], v[163:164]
	v_fma_f64 v[10:11], v[121:122], s[14:15], -v[165:166]
	v_add_f64_e32 v[8:9], v[8:9], v[12:13]
	v_fma_f64 v[12:13], v[119:120], s[18:19], v[159:160]
	s_delay_alu instid0(VALU_DEP_3) | instskip(SKIP_1) | instid1(VALU_DEP_3)
	v_add_f64_e32 v[10:11], v[10:11], v[14:15]
	v_fma_f64 v[14:15], v[121:122], s[18:19], -v[161:162]
	v_add_f64_e32 v[12:13], v[12:13], v[16:17]
	v_fma_f64 v[16:17], v[119:120], s[0:1], v[155:156]
	s_delay_alu instid0(VALU_DEP_3) | instskip(SKIP_1) | instid1(VALU_DEP_3)
	v_add_f64_e32 v[14:15], v[14:15], v[18:19]
	;; [unrolled: 5-line block ×3, first 2 shown]
	v_fma_f64 v[22:23], v[121:122], s[22:23], -v[179:180]
	v_add_f64_e32 v[20:21], v[20:21], v[28:29]
	v_fma_f64 v[28:29], v[119:120], s[6:7], -v[175:176]
	s_delay_alu instid0(VALU_DEP_3) | instskip(NEXT) | instid1(VALU_DEP_2)
	v_add_f64_e32 v[22:23], v[22:23], v[30:31]
	v_add_f64_e32 v[28:29], v[28:29], v[34:35]
	v_mul_f64_e32 v[34:35], s[38:39], v[151:152]
	v_mul_f64_e32 v[151:152], s[24:25], v[151:152]
	s_delay_alu instid0(VALU_DEP_2) | instskip(SKIP_1) | instid1(VALU_DEP_2)
	v_fma_f64 v[30:31], v[121:122], s[6:7], v[34:35]
	v_fma_f64 v[34:35], v[121:122], s[6:7], -v[34:35]
	v_add_f64_e32 v[30:31], v[30:31], v[58:59]
	s_delay_alu instid0(VALU_DEP_2) | instskip(SKIP_3) | instid1(VALU_DEP_3)
	v_add_f64_e32 v[34:35], v[34:35], v[56:57]
	v_fma_f64 v[56:57], v[119:120], s[16:17], -v[153:154]
	v_fma_f64 v[58:59], v[119:120], s[6:7], v[175:176]
	v_mul_f64_e32 v[175:176], s[34:35], v[209:210]
	v_add_f64_e32 v[56:57], v[56:57], v[80:81]
	v_fma_f64 v[80:81], v[119:120], s[16:17], v[153:154]
	s_delay_alu instid0(VALU_DEP_4) | instskip(SKIP_2) | instid1(VALU_DEP_4)
	v_add_f64_e32 v[32:33], v[58:59], v[32:33]
	v_fma_f64 v[58:59], v[121:122], s[16:17], v[151:152]
	v_add_f64_e32 v[153:154], v[102:103], v[106:107]
	v_add_f64_e32 v[80:81], v[80:81], v[2:3]
	v_fma_f64 v[2:3], v[121:122], s[16:17], -v[151:152]
	v_add_f64_e32 v[151:152], v[100:101], v[104:105]
	v_add_f64_e32 v[58:59], v[58:59], v[82:83]
	s_delay_alu instid0(VALU_DEP_3) | instskip(NEXT) | instid1(VALU_DEP_3)
	v_add_f64_e32 v[82:83], v[2:3], v[0:1]
	v_fma_f64 v[0:1], v[151:152], s[22:23], v[175:176]
	v_fma_f64 v[2:3], v[153:154], s[22:23], -v[181:182]
	s_delay_alu instid0(VALU_DEP_2) | instskip(SKIP_1) | instid1(VALU_DEP_3)
	v_add_f64_e32 v[0:1], v[0:1], v[4:5]
	v_fma_f64 v[4:5], v[151:152], s[0:1], v[183:184]
	v_add_f64_e32 v[2:3], v[2:3], v[6:7]
	v_fma_f64 v[6:7], v[153:154], s[0:1], -v[185:186]
	s_delay_alu instid0(VALU_DEP_3) | instskip(SKIP_1) | instid1(VALU_DEP_3)
	v_add_f64_e32 v[4:5], v[4:5], v[187:188]
	v_mul_f64_e32 v[187:188], s[30:31], v[209:210]
	v_add_f64_e32 v[6:7], v[6:7], v[189:190]
	v_mul_f64_e32 v[189:190], s[30:31], v[199:200]
	s_delay_alu instid0(VALU_DEP_3) | instskip(NEXT) | instid1(VALU_DEP_1)
	v_fma_f64 v[191:192], v[151:152], s[20:21], v[187:188]
	v_add_f64_e32 v[8:9], v[191:192], v[8:9]
	s_delay_alu instid0(VALU_DEP_3) | instskip(NEXT) | instid1(VALU_DEP_1)
	v_fma_f64 v[191:192], v[153:154], s[20:21], -v[189:190]
	v_add_f64_e32 v[10:11], v[191:192], v[10:11]
	v_mul_f64_e32 v[191:192], s[38:39], v[209:210]
	s_delay_alu instid0(VALU_DEP_1) | instskip(NEXT) | instid1(VALU_DEP_1)
	v_fma_f64 v[195:196], v[151:152], s[6:7], v[191:192]
	v_add_f64_e32 v[12:13], v[195:196], v[12:13]
	v_fma_f64 v[195:196], v[153:154], s[6:7], -v[193:194]
	s_delay_alu instid0(VALU_DEP_1) | instskip(SKIP_1) | instid1(VALU_DEP_1)
	v_add_f64_e32 v[14:15], v[195:196], v[14:15]
	v_mul_f64_e32 v[195:196], s[26:27], v[209:210]
	v_fma_f64 v[205:206], v[151:152], s[18:19], v[195:196]
	s_delay_alu instid0(VALU_DEP_1) | instskip(SKIP_1) | instid1(VALU_DEP_1)
	v_add_f64_e32 v[16:17], v[205:206], v[16:17]
	v_fma_f64 v[205:206], v[153:154], s[18:19], -v[197:198]
	v_add_f64_e32 v[18:19], v[205:206], v[18:19]
	v_mul_f64_e32 v[205:206], s[28:29], v[209:210]
	s_delay_alu instid0(VALU_DEP_1) | instskip(NEXT) | instid1(VALU_DEP_1)
	v_fma_f64 v[212:213], v[151:152], s[10:11], v[205:206]
	v_add_f64_e32 v[20:21], v[212:213], v[20:21]
	v_fma_f64 v[212:213], v[153:154], s[10:11], -v[207:208]
	s_delay_alu instid0(VALU_DEP_1) | instskip(SKIP_2) | instid1(VALU_DEP_2)
	v_add_f64_e32 v[22:23], v[212:213], v[22:23]
	v_mul_f64_e32 v[212:213], s[24:25], v[209:210]
	v_mul_f64_e32 v[209:210], s[36:37], v[209:210]
	v_fma_f64 v[214:215], v[151:152], s[16:17], -v[212:213]
	v_fma_f64 v[212:213], v[151:152], s[16:17], v[212:213]
	s_delay_alu instid0(VALU_DEP_2) | instskip(SKIP_1) | instid1(VALU_DEP_3)
	v_add_f64_e32 v[28:29], v[214:215], v[28:29]
	v_mul_f64_e32 v[214:215], s[24:25], v[199:200]
	v_add_f64_e32 v[32:33], v[212:213], v[32:33]
	v_mul_f64_e32 v[199:200], s[36:37], v[199:200]
	s_delay_alu instid0(VALU_DEP_3) | instskip(SKIP_1) | instid1(VALU_DEP_2)
	v_fma_f64 v[212:213], v[153:154], s[16:17], -v[214:215]
	v_fma_f64 v[216:217], v[153:154], s[16:17], v[214:215]
	v_add_f64_e32 v[34:35], v[212:213], v[34:35]
	v_fma_f64 v[212:213], v[151:152], s[14:15], -v[209:210]
	v_fma_f64 v[209:210], v[151:152], s[14:15], v[209:210]
	s_delay_alu instid0(VALU_DEP_4) | instskip(NEXT) | instid1(VALU_DEP_3)
	v_add_f64_e32 v[30:31], v[216:217], v[30:31]
	v_add_f64_e32 v[56:57], v[212:213], v[56:57]
	v_fma_f64 v[212:213], v[153:154], s[14:15], v[199:200]
	v_fma_f64 v[199:200], v[153:154], s[14:15], -v[199:200]
	v_add_f64_e32 v[80:81], v[209:210], v[80:81]
	s_delay_alu instid0(VALU_DEP_3) | instskip(NEXT) | instid1(VALU_DEP_3)
	v_add_f64_e32 v[58:59], v[212:213], v[58:59]
	v_add_f64_e32 v[82:83], v[199:200], v[82:83]
	v_mul_lo_u16 v199, v255, 17
	s_and_saveexec_b32 s24, vcc_lo
	s_cbranch_execz .LBB0_7
; %bb.6:
	v_add_f64_e32 v[66:67], v[66:67], v[26:27]
	v_add_f64_e32 v[64:65], v[64:65], v[24:25]
	s_delay_alu instid0(VALU_DEP_2) | instskip(NEXT) | instid1(VALU_DEP_2)
	v_add_f64_e32 v[66:67], v[70:71], v[66:67]
	v_add_f64_e32 v[64:65], v[68:69], v[64:65]
	scratch_load_b64 v[68:69], off, off offset:4 th:TH_LOAD_LU ; 8-byte Folded Reload
	v_add_f64_e32 v[66:67], v[74:75], v[66:67]
	v_add_f64_e32 v[64:65], v[72:73], v[64:65]
	v_mul_f64_e32 v[72:73], s[0:1], v[145:146]
	scratch_load_b64 v[74:75], off, off offset:308 th:TH_LOAD_LU ; 8-byte Folded Reload
	v_add_f64_e32 v[66:67], v[78:79], v[66:67]
	v_add_f64_e32 v[64:65], v[76:77], v[64:65]
	scratch_load_b64 v[76:77], off, off offset:212 th:TH_LOAD_LU ; 8-byte Folded Reload
	v_mul_f64_e32 v[78:79], s[14:15], v[201:202]
	v_add_f64_e32 v[66:67], v[86:87], v[66:67]
	v_add_f64_e32 v[64:65], v[84:85], v[64:65]
	v_mul_f64_e32 v[84:85], s[6:7], v[231:232]
	s_delay_alu instid0(VALU_DEP_4) | instskip(NEXT) | instid1(VALU_DEP_4)
	v_add_f64_e64 v[78:79], v[78:79], -v[249:250]
	v_add_f64_e32 v[66:67], v[66:67], v[90:91]
	s_delay_alu instid0(VALU_DEP_4) | instskip(NEXT) | instid1(VALU_DEP_4)
	v_add_f64_e32 v[64:65], v[88:89], v[64:65]
	v_add_f64_e32 v[84:85], v[147:148], v[84:85]
	s_delay_alu instid0(VALU_DEP_3) | instskip(NEXT) | instid1(VALU_DEP_3)
	v_add_f64_e32 v[66:67], v[66:67], v[98:99]
	v_add_f64_e32 v[64:65], v[96:97], v[64:65]
	s_delay_alu instid0(VALU_DEP_2) | instskip(NEXT) | instid1(VALU_DEP_2)
	v_add_f64_e32 v[66:67], v[66:67], v[102:103]
	v_add_f64_e32 v[64:65], v[64:65], v[100:101]
	s_delay_alu instid0(VALU_DEP_2) | instskip(NEXT) | instid1(VALU_DEP_2)
	;; [unrolled: 3-line block ×4, first 2 shown]
	v_add_f64_e32 v[62:63], v[66:67], v[62:63]
	v_add_f64_e32 v[60:61], v[64:65], v[60:61]
	s_clause 0x1
	scratch_load_b64 v[64:65], off, off offset:28 th:TH_LOAD_LU
	scratch_load_b64 v[66:67], off, off offset:12 th:TH_LOAD_LU
	s_wait_loadcnt 0x3
	v_add_f64_e64 v[72:73], v[72:73], -v[74:75]
	v_mul_f64_e32 v[74:75], s[16:17], v[109:110]
	v_add_f64_e32 v[54:55], v[62:63], v[54:55]
	v_add_f64_e32 v[52:53], v[60:61], v[52:53]
	s_clause 0x1
	scratch_load_b64 v[60:61], off, off offset:60 th:TH_LOAD_LU
	scratch_load_b64 v[62:63], off, off offset:44 th:TH_LOAD_LU
	s_wait_loadcnt 0x4
	v_add_f64_e64 v[74:75], v[74:75], -v[76:77]
	v_mul_f64_e32 v[76:77], s[14:15], v[203:204]
	v_add_f64_e32 v[50:51], v[54:55], v[50:51]
	v_add_f64_e32 v[48:49], v[52:53], v[48:49]
	s_clause 0x1
	scratch_load_b64 v[52:53], off, off offset:76 th:TH_LOAD_LU
	scratch_load_b64 v[54:55], off, off offset:68 th:TH_LOAD_LU
	v_add_f64_e32 v[76:77], v[218:219], v[76:77]
	v_add_f64_e32 v[46:47], v[50:51], v[46:47]
	;; [unrolled: 1-line block ×3, first 2 shown]
	s_clause 0x1
	scratch_load_b64 v[48:49], off, off offset:92 th:TH_LOAD_LU
	scratch_load_b64 v[50:51], off, off offset:84 th:TH_LOAD_LU
	v_add_f64_e32 v[42:43], v[46:47], v[42:43]
	v_add_f64_e32 v[40:41], v[44:45], v[40:41]
	s_clause 0x1
	scratch_load_b64 v[44:45], off, off offset:116 th:TH_LOAD_LU
	scratch_load_b64 v[46:47], off, off offset:108 th:TH_LOAD_LU
	v_add_f64_e32 v[38:39], v[42:43], v[38:39]
	scratch_load_b64 v[42:43], off, off offset:124 th:TH_LOAD_LU ; 8-byte Folded Reload
	v_add_f64_e32 v[36:37], v[40:41], v[36:37]
	v_mul_f64_e32 v[40:41], s[18:19], v[115:116]
	s_wait_loadcnt 0x0
	s_delay_alu instid0(VALU_DEP_1) | instskip(SKIP_1) | instid1(VALU_DEP_2)
	v_add_f64_e32 v[40:41], v[42:43], v[40:41]
	v_mul_f64_e32 v[42:43], s[18:19], v[113:114]
	v_add_f64_e32 v[40:41], v[26:27], v[40:41]
	s_delay_alu instid0(VALU_DEP_2) | instskip(SKIP_1) | instid1(VALU_DEP_2)
	v_add_f64_e64 v[42:43], v[42:43], -v[44:45]
	v_mul_f64_e32 v[44:45], s[16:17], v[115:116]
	v_add_f64_e32 v[42:43], v[24:25], v[42:43]
	s_delay_alu instid0(VALU_DEP_2) | instskip(SKIP_1) | instid1(VALU_DEP_3)
	v_add_f64_e32 v[44:45], v[46:47], v[44:45]
	v_mul_f64_e32 v[46:47], s[16:17], v[113:114]
	v_add_f64_e32 v[42:43], v[74:75], v[42:43]
	scratch_load_b64 v[74:75], off, off offset:292 th:TH_LOAD_LU ; 8-byte Folded Reload
	v_add_f64_e64 v[46:47], v[46:47], -v[48:49]
	v_mul_f64_e32 v[48:49], s[14:15], v[115:116]
	s_delay_alu instid0(VALU_DEP_2) | instskip(NEXT) | instid1(VALU_DEP_2)
	v_add_f64_e32 v[70:71], v[24:25], v[46:47]
	v_add_f64_e32 v[48:49], v[50:51], v[48:49]
	v_mul_f64_e32 v[50:51], s[14:15], v[113:114]
	s_delay_alu instid0(VALU_DEP_2) | instskip(NEXT) | instid1(VALU_DEP_2)
	v_add_f64_e32 v[48:49], v[26:27], v[48:49]
	v_add_f64_e64 v[50:51], v[50:51], -v[52:53]
	v_mul_f64_e32 v[52:53], s[10:11], v[115:116]
	s_delay_alu instid0(VALU_DEP_2) | instskip(NEXT) | instid1(VALU_DEP_2)
	v_add_f64_e32 v[50:51], v[24:25], v[50:51]
	v_add_f64_e32 v[52:53], v[54:55], v[52:53]
	v_mul_f64_e32 v[54:55], s[10:11], v[113:114]
	s_delay_alu instid0(VALU_DEP_1) | instskip(SKIP_1) | instid1(VALU_DEP_2)
	v_add_f64_e64 v[54:55], v[54:55], -v[60:61]
	v_mul_f64_e32 v[60:61], s[6:7], v[115:116]
	v_add_f64_e32 v[46:47], v[24:25], v[54:55]
	s_delay_alu instid0(VALU_DEP_2) | instskip(SKIP_1) | instid1(VALU_DEP_1)
	v_add_f64_e32 v[60:61], v[62:63], v[60:61]
	v_mul_f64_e32 v[62:63], s[6:7], v[113:114]
	v_add_f64_e64 v[62:63], v[62:63], -v[64:65]
	v_mul_f64_e32 v[64:65], s[0:1], v[115:116]
	s_delay_alu instid0(VALU_DEP_2) | instskip(NEXT) | instid1(VALU_DEP_2)
	v_add_f64_e32 v[54:55], v[24:25], v[62:63]
	v_add_f64_e32 v[64:65], v[66:67], v[64:65]
	v_mul_f64_e32 v[66:67], s[0:1], v[113:114]
	s_delay_alu instid0(VALU_DEP_1)
	v_add_f64_e64 v[66:67], v[66:67], -v[68:69]
	v_add_f64_e32 v[68:69], v[26:27], v[44:45]
	v_add_f64_e32 v[44:45], v[26:27], v[52:53]
	;; [unrolled: 1-line block ×4, first 2 shown]
	scratch_load_b64 v[64:65], off, off offset:316 th:TH_LOAD_LU ; 8-byte Folded Reload
	v_mul_f64_e32 v[26:27], s[0:1], v[149:150]
	v_add_f64_e32 v[62:63], v[24:25], v[66:67]
	scratch_load_b64 v[66:67], off, off offset:220 th:TH_LOAD_LU ; 8-byte Folded Reload
	v_mul_f64_e32 v[24:25], s[20:21], v[177:178]
	s_delay_alu instid0(VALU_DEP_1) | instskip(SKIP_4) | instid1(VALU_DEP_1)
	v_add_f64_e32 v[24:25], v[227:228], v[24:25]
	s_wait_loadcnt 0x1
	v_add_f64_e32 v[26:27], v[64:65], v[26:27]
	v_mul_f64_e32 v[64:65], s[16:17], v[111:112]
	s_wait_loadcnt 0x0
	v_add_f64_e32 v[64:65], v[66:67], v[64:65]
	v_mul_f64_e32 v[66:67], s[20:21], v[173:174]
	s_delay_alu instid0(VALU_DEP_2) | instskip(NEXT) | instid1(VALU_DEP_2)
	v_add_f64_e32 v[40:41], v[64:65], v[40:41]
	v_add_f64_e64 v[66:67], v[66:67], -v[221:222]
	v_mul_f64_e32 v[64:65], s[6:7], v[229:230]
	s_delay_alu instid0(VALU_DEP_3) | instskip(SKIP_1) | instid1(VALU_DEP_3)
	v_add_f64_e32 v[26:27], v[26:27], v[40:41]
	v_add_f64_e32 v[40:41], v[72:73], v[42:43]
	v_add_f64_e64 v[64:65], v[64:65], -v[143:144]
	v_mul_f64_e32 v[42:43], s[22:23], v[121:122]
	scratch_load_b64 v[72:73], off, off offset:388 th:TH_LOAD_LU ; 8-byte Folded Reload
	v_add_f64_e32 v[24:25], v[24:25], v[26:27]
	v_add_f64_e32 v[26:27], v[66:67], v[40:41]
	v_mul_f64_e32 v[40:41], s[22:23], v[119:120]
	v_add_f64_e32 v[42:43], v[179:180], v[42:43]
	v_mul_f64_e32 v[66:67], s[10:11], v[153:154]
	v_add_f64_e32 v[24:25], v[76:77], v[24:25]
	v_add_f64_e32 v[26:27], v[78:79], v[26:27]
	v_add_f64_e64 v[40:41], v[40:41], -v[171:172]
	scratch_load_b64 v[76:77], off, off offset:196 th:TH_LOAD_LU ; 8-byte Folded Reload
	v_add_f64_e32 v[66:67], v[207:208], v[66:67]
	v_mul_f64_e32 v[78:79], s[20:21], v[201:202]
	v_add_f64_e32 v[24:25], v[84:85], v[24:25]
	v_add_f64_e32 v[26:27], v[64:65], v[26:27]
	v_mul_f64_e32 v[64:65], s[10:11], v[151:152]
	v_mul_f64_e32 v[84:85], s[16:17], v[231:232]
	v_add_f64_e64 v[78:79], v[78:79], -v[245:246]
	v_add_f64_e32 v[24:25], v[42:43], v[24:25]
	v_add_f64_e32 v[40:41], v[40:41], v[26:27]
	v_add_f64_e64 v[64:65], v[64:65], -v[205:206]
	scratch_load_b64 v[42:43], off, off offset:396 th:TH_LOAD_LU ; 8-byte Folded Reload
	v_add_f64_e32 v[84:85], v[137:138], v[84:85]
	v_add_f64_e32 v[26:27], v[66:67], v[24:25]
	scratch_load_b64 v[66:67], off, off offset:204 th:TH_LOAD_LU ; 8-byte Folded Reload
	v_add_f64_e32 v[24:25], v[64:65], v[40:41]
	scratch_load_b64 v[64:65], off, off offset:300 th:TH_LOAD_LU ; 8-byte Folded Reload
	v_mul_f64_e32 v[40:41], s[22:23], v[177:178]
	s_wait_loadcnt 0x2
	s_delay_alu instid0(VALU_DEP_1) | instskip(SKIP_2) | instid1(VALU_DEP_1)
	v_add_f64_e32 v[40:41], v[42:43], v[40:41]
	v_mul_f64_e32 v[42:43], s[18:19], v[149:150]
	s_wait_loadcnt 0x0
	v_add_f64_e32 v[42:43], v[64:65], v[42:43]
	v_mul_f64_e32 v[64:65], s[14:15], v[111:112]
	s_delay_alu instid0(VALU_DEP_1) | instskip(SKIP_1) | instid1(VALU_DEP_2)
	v_add_f64_e32 v[64:65], v[66:67], v[64:65]
	v_mul_f64_e32 v[66:67], s[22:23], v[173:174]
	v_add_f64_e32 v[52:53], v[64:65], v[52:53]
	s_delay_alu instid0(VALU_DEP_2) | instskip(SKIP_2) | instid1(VALU_DEP_4)
	v_add_f64_e64 v[66:67], v[66:67], -v[72:73]
	v_mul_f64_e32 v[72:73], s[18:19], v[145:146]
	v_mul_f64_e32 v[64:65], s[16:17], v[229:230]
	v_add_f64_e32 v[42:43], v[42:43], v[52:53]
	s_delay_alu instid0(VALU_DEP_3) | instskip(SKIP_1) | instid1(VALU_DEP_4)
	v_add_f64_e64 v[72:73], v[72:73], -v[74:75]
	v_mul_f64_e32 v[74:75], s[14:15], v[109:110]
	v_add_f64_e64 v[64:65], v[64:65], -v[135:136]
	s_delay_alu instid0(VALU_DEP_4) | instskip(NEXT) | instid1(VALU_DEP_3)
	v_add_f64_e32 v[40:41], v[40:41], v[42:43]
	v_add_f64_e64 v[74:75], v[74:75], -v[76:77]
	v_mul_f64_e32 v[76:77], s[20:21], v[203:204]
	s_delay_alu instid0(VALU_DEP_2) | instskip(NEXT) | instid1(VALU_DEP_2)
	v_add_f64_e32 v[54:55], v[74:75], v[54:55]
	v_add_f64_e32 v[76:77], v[247:248], v[76:77]
	scratch_load_b64 v[74:75], off, off offset:276 th:TH_LOAD_LU ; 8-byte Folded Reload
	v_add_f64_e32 v[52:53], v[72:73], v[54:55]
	v_mul_f64_e32 v[54:55], s[10:11], v[121:122]
	v_add_f64_e32 v[40:41], v[76:77], v[40:41]
	s_clause 0x1
	scratch_load_b64 v[72:73], off, off offset:372 th:TH_LOAD_LU
	scratch_load_b64 v[76:77], off, off offset:180 th:TH_LOAD_LU
	v_add_f64_e32 v[42:43], v[66:67], v[52:53]
	v_mul_f64_e32 v[52:53], s[10:11], v[119:120]
	v_add_f64_e32 v[54:55], v[169:170], v[54:55]
	v_mul_f64_e32 v[66:67], s[0:1], v[153:154]
	;; [unrolled: 2-line block ×3, first 2 shown]
	v_add_f64_e32 v[42:43], v[78:79], v[42:43]
	v_add_f64_e64 v[52:53], v[52:53], -v[167:168]
	v_mul_f64_e32 v[78:79], s[6:7], v[201:202]
	v_add_f64_e32 v[66:67], v[185:186], v[66:67]
	v_add_f64_e32 v[40:41], v[54:55], v[40:41]
	scratch_load_b64 v[54:55], off, off offset:380 th:TH_LOAD_LU ; 8-byte Folded Reload
	v_add_f64_e32 v[84:85], v[133:134], v[84:85]
	v_add_f64_e32 v[42:43], v[64:65], v[42:43]
	v_mul_f64_e32 v[64:65], s[0:1], v[151:152]
	v_add_f64_e64 v[78:79], v[78:79], -v[241:242]
	s_delay_alu instid0(VALU_DEP_3) | instskip(NEXT) | instid1(VALU_DEP_3)
	v_add_f64_e32 v[52:53], v[52:53], v[42:43]
	v_add_f64_e64 v[64:65], v[64:65], -v[183:184]
	v_add_f64_e32 v[42:43], v[66:67], v[40:41]
	scratch_load_b64 v[66:67], off, off offset:188 th:TH_LOAD_LU ; 8-byte Folded Reload
	v_add_f64_e32 v[40:41], v[64:65], v[52:53]
	scratch_load_b64 v[64:65], off, off offset:284 th:TH_LOAD_LU ; 8-byte Folded Reload
	v_mul_f64_e32 v[52:53], s[16:17], v[177:178]
	s_wait_loadcnt 0x2
	s_delay_alu instid0(VALU_DEP_1) | instskip(SKIP_2) | instid1(VALU_DEP_1)
	v_add_f64_e32 v[52:53], v[54:55], v[52:53]
	v_mul_f64_e32 v[54:55], s[22:23], v[149:150]
	s_wait_loadcnt 0x0
	v_add_f64_e32 v[54:55], v[64:65], v[54:55]
	v_mul_f64_e32 v[64:65], s[18:19], v[111:112]
	s_delay_alu instid0(VALU_DEP_1) | instskip(SKIP_1) | instid1(VALU_DEP_2)
	v_add_f64_e32 v[64:65], v[66:67], v[64:65]
	v_mul_f64_e32 v[66:67], s[16:17], v[173:174]
	v_add_f64_e32 v[44:45], v[64:65], v[44:45]
	s_delay_alu instid0(VALU_DEP_2) | instskip(SKIP_2) | instid1(VALU_DEP_4)
	v_add_f64_e64 v[66:67], v[66:67], -v[72:73]
	v_mul_f64_e32 v[72:73], s[22:23], v[145:146]
	v_mul_f64_e32 v[64:65], s[0:1], v[229:230]
	v_add_f64_e32 v[44:45], v[54:55], v[44:45]
	v_mul_f64_e32 v[54:55], s[14:15], v[121:122]
	s_delay_alu instid0(VALU_DEP_4)
	v_add_f64_e64 v[72:73], v[72:73], -v[74:75]
	v_mul_f64_e32 v[74:75], s[18:19], v[109:110]
	v_add_f64_e64 v[64:65], v[64:65], -v[131:132]
	v_add_f64_e32 v[44:45], v[52:53], v[44:45]
	v_mul_f64_e32 v[52:53], s[14:15], v[119:120]
	v_add_f64_e32 v[54:55], v[165:166], v[54:55]
	v_add_f64_e64 v[74:75], v[74:75], -v[76:77]
	v_mul_f64_e32 v[76:77], s[6:7], v[203:204]
	s_delay_alu instid0(VALU_DEP_4) | instskip(NEXT) | instid1(VALU_DEP_3)
	v_add_f64_e64 v[52:53], v[52:53], -v[163:164]
	v_add_f64_e32 v[46:47], v[74:75], v[46:47]
	s_delay_alu instid0(VALU_DEP_3)
	v_add_f64_e32 v[76:77], v[243:244], v[76:77]
	scratch_load_b64 v[74:75], off, off offset:260 th:TH_LOAD_LU ; 8-byte Folded Reload
	v_add_f64_e32 v[46:47], v[72:73], v[46:47]
	v_add_f64_e32 v[44:45], v[76:77], v[44:45]
	s_clause 0x1
	scratch_load_b64 v[72:73], off, off offset:356 th:TH_LOAD_LU
	scratch_load_b64 v[76:77], off, off offset:164 th:TH_LOAD_LU
	v_add_f64_e32 v[46:47], v[66:67], v[46:47]
	v_mul_f64_e32 v[66:67], s[20:21], v[153:154]
	v_add_f64_e32 v[44:45], v[84:85], v[44:45]
	v_mul_f64_e32 v[84:85], s[20:21], v[231:232]
	s_delay_alu instid0(VALU_DEP_4) | instskip(NEXT) | instid1(VALU_DEP_4)
	v_add_f64_e32 v[46:47], v[78:79], v[46:47]
	v_add_f64_e32 v[66:67], v[189:190], v[66:67]
	s_delay_alu instid0(VALU_DEP_4)
	v_add_f64_e32 v[44:45], v[54:55], v[44:45]
	scratch_load_b64 v[54:55], off, off offset:364 th:TH_LOAD_LU ; 8-byte Folded Reload
	v_mul_f64_e32 v[78:79], s[10:11], v[201:202]
	v_add_f64_e32 v[84:85], v[129:130], v[84:85]
	v_add_f64_e32 v[46:47], v[64:65], v[46:47]
	v_mul_f64_e32 v[64:65], s[20:21], v[151:152]
	s_delay_alu instid0(VALU_DEP_4) | instskip(NEXT) | instid1(VALU_DEP_3)
	v_add_f64_e64 v[78:79], v[78:79], -v[237:238]
	v_add_f64_e32 v[52:53], v[52:53], v[46:47]
	s_delay_alu instid0(VALU_DEP_3)
	v_add_f64_e64 v[64:65], v[64:65], -v[187:188]
	v_add_f64_e32 v[46:47], v[66:67], v[44:45]
	scratch_load_b64 v[66:67], off, off offset:172 th:TH_LOAD_LU ; 8-byte Folded Reload
	v_add_f64_e32 v[44:45], v[64:65], v[52:53]
	scratch_load_b64 v[64:65], off, off offset:268 th:TH_LOAD_LU ; 8-byte Folded Reload
	v_mul_f64_e32 v[52:53], s[0:1], v[177:178]
	s_wait_loadcnt 0x2
	s_delay_alu instid0(VALU_DEP_1) | instskip(SKIP_2) | instid1(VALU_DEP_1)
	v_add_f64_e32 v[52:53], v[54:55], v[52:53]
	v_mul_f64_e32 v[54:55], s[16:17], v[149:150]
	s_wait_loadcnt 0x0
	v_add_f64_e32 v[54:55], v[64:65], v[54:55]
	v_mul_f64_e32 v[64:65], s[22:23], v[111:112]
	s_delay_alu instid0(VALU_DEP_1) | instskip(SKIP_1) | instid1(VALU_DEP_2)
	v_add_f64_e32 v[64:65], v[66:67], v[64:65]
	v_mul_f64_e32 v[66:67], s[0:1], v[173:174]
	v_add_f64_e32 v[48:49], v[64:65], v[48:49]
	s_delay_alu instid0(VALU_DEP_2) | instskip(SKIP_2) | instid1(VALU_DEP_4)
	v_add_f64_e64 v[66:67], v[66:67], -v[72:73]
	v_mul_f64_e32 v[72:73], s[16:17], v[145:146]
	v_mul_f64_e32 v[64:65], s[20:21], v[229:230]
	v_add_f64_e32 v[48:49], v[54:55], v[48:49]
	v_mul_f64_e32 v[54:55], s[18:19], v[121:122]
	s_delay_alu instid0(VALU_DEP_4)
	v_add_f64_e64 v[72:73], v[72:73], -v[74:75]
	v_mul_f64_e32 v[74:75], s[22:23], v[109:110]
	v_add_f64_e64 v[64:65], v[64:65], -v[127:128]
	v_add_f64_e32 v[48:49], v[52:53], v[48:49]
	v_mul_f64_e32 v[52:53], s[18:19], v[119:120]
	v_add_f64_e32 v[54:55], v[161:162], v[54:55]
	v_add_f64_e64 v[74:75], v[74:75], -v[76:77]
	v_mul_f64_e32 v[76:77], s[10:11], v[203:204]
	s_delay_alu instid0(VALU_DEP_4) | instskip(NEXT) | instid1(VALU_DEP_3)
	v_add_f64_e64 v[52:53], v[52:53], -v[159:160]
	v_add_f64_e32 v[50:51], v[74:75], v[50:51]
	s_delay_alu instid0(VALU_DEP_3)
	v_add_f64_e32 v[76:77], v[239:240], v[76:77]
	scratch_load_b64 v[74:75], off, off offset:244 th:TH_LOAD_LU ; 8-byte Folded Reload
	v_add_f64_e32 v[50:51], v[72:73], v[50:51]
	v_add_f64_e32 v[48:49], v[76:77], v[48:49]
	s_clause 0x1
	scratch_load_b64 v[72:73], off, off offset:340 th:TH_LOAD_LU
	scratch_load_b64 v[76:77], off, off offset:148 th:TH_LOAD_LU
	v_add_f64_e32 v[50:51], v[66:67], v[50:51]
	v_mul_f64_e32 v[66:67], s[6:7], v[153:154]
	v_add_f64_e32 v[48:49], v[84:85], v[48:49]
	v_mul_f64_e32 v[84:85], s[14:15], v[231:232]
	s_delay_alu instid0(VALU_DEP_4) | instskip(NEXT) | instid1(VALU_DEP_4)
	v_add_f64_e32 v[50:51], v[78:79], v[50:51]
	v_add_f64_e32 v[66:67], v[193:194], v[66:67]
	s_delay_alu instid0(VALU_DEP_4)
	v_add_f64_e32 v[48:49], v[54:55], v[48:49]
	scratch_load_b64 v[54:55], off, off offset:348 th:TH_LOAD_LU ; 8-byte Folded Reload
	v_mul_f64_e32 v[78:79], s[22:23], v[201:202]
	v_add_f64_e32 v[84:85], v[125:126], v[84:85]
	v_add_f64_e32 v[50:51], v[64:65], v[50:51]
	v_mul_f64_e32 v[64:65], s[6:7], v[151:152]
	s_delay_alu instid0(VALU_DEP_4) | instskip(NEXT) | instid1(VALU_DEP_3)
	v_add_f64_e64 v[78:79], v[78:79], -v[233:234]
	v_add_f64_e32 v[52:53], v[52:53], v[50:51]
	s_delay_alu instid0(VALU_DEP_3)
	v_add_f64_e64 v[64:65], v[64:65], -v[191:192]
	v_add_f64_e32 v[50:51], v[66:67], v[48:49]
	scratch_load_b64 v[66:67], off, off offset:156 th:TH_LOAD_LU ; 8-byte Folded Reload
	v_add_f64_e32 v[48:49], v[64:65], v[52:53]
	scratch_load_b64 v[64:65], off, off offset:252 th:TH_LOAD_LU ; 8-byte Folded Reload
	v_mul_f64_e32 v[52:53], s[10:11], v[177:178]
	s_wait_loadcnt 0x2
	s_delay_alu instid0(VALU_DEP_1) | instskip(SKIP_2) | instid1(VALU_DEP_1)
	v_add_f64_e32 v[52:53], v[54:55], v[52:53]
	v_mul_f64_e32 v[54:55], s[6:7], v[149:150]
	s_wait_loadcnt 0x0
	v_add_f64_e32 v[54:55], v[64:65], v[54:55]
	v_mul_f64_e32 v[64:65], s[20:21], v[111:112]
	s_delay_alu instid0(VALU_DEP_1) | instskip(SKIP_1) | instid1(VALU_DEP_2)
	v_add_f64_e32 v[64:65], v[66:67], v[64:65]
	v_mul_f64_e32 v[66:67], s[10:11], v[173:174]
	v_add_f64_e32 v[64:65], v[64:65], v[68:69]
	s_delay_alu instid0(VALU_DEP_2) | instskip(SKIP_1) | instid1(VALU_DEP_3)
	v_add_f64_e64 v[66:67], v[66:67], -v[72:73]
	v_mul_f64_e32 v[72:73], s[6:7], v[145:146]
	v_add_f64_e32 v[54:55], v[54:55], v[64:65]
	s_delay_alu instid0(VALU_DEP_2) | instskip(SKIP_1) | instid1(VALU_DEP_3)
	v_add_f64_e64 v[72:73], v[72:73], -v[74:75]
	v_mul_f64_e32 v[74:75], s[20:21], v[109:110]
	v_add_f64_e32 v[52:53], v[52:53], v[54:55]
	s_delay_alu instid0(VALU_DEP_2) | instskip(SKIP_1) | instid1(VALU_DEP_2)
	v_add_f64_e64 v[74:75], v[74:75], -v[76:77]
	v_mul_f64_e32 v[76:77], s[22:23], v[203:204]
	v_add_f64_e32 v[68:69], v[74:75], v[70:71]
	s_delay_alu instid0(VALU_DEP_2)
	v_add_f64_e32 v[76:77], v[235:236], v[76:77]
	v_mul_f64_e32 v[70:71], s[14:15], v[229:230]
	scratch_load_b64 v[74:75], off, off offset:228 th:TH_LOAD_LU ; 8-byte Folded Reload
	v_add_f64_e32 v[64:65], v[72:73], v[68:69]
	v_mul_f64_e32 v[68:69], s[0:1], v[121:122]
	v_add_f64_e32 v[52:53], v[76:77], v[52:53]
	v_add_f64_e64 v[70:71], v[70:71], -v[123:124]
	s_clause 0x1
	scratch_load_b64 v[72:73], off, off offset:132 th:TH_LOAD_LU
	scratch_load_b64 v[76:77], off, off offset:324 th:TH_LOAD_LU
	v_add_f64_e32 v[54:55], v[66:67], v[64:65]
	v_add_f64_e32 v[68:69], v[157:158], v[68:69]
	v_mul_f64_e32 v[64:65], s[0:1], v[119:120]
	v_mul_f64_e32 v[66:67], s[18:19], v[153:154]
	v_add_f64_e32 v[52:53], v[84:85], v[52:53]
	v_mul_f64_e32 v[84:85], s[18:19], v[231:232]
	v_add_f64_e32 v[54:55], v[78:79], v[54:55]
	v_mul_f64_e32 v[78:79], s[16:17], v[201:202]
	v_add_f64_e64 v[64:65], v[64:65], -v[155:156]
	v_add_f64_e32 v[66:67], v[197:198], v[66:67]
	v_add_f64_e32 v[52:53], v[68:69], v[52:53]
	scratch_load_b64 v[68:69], off, off offset:236 th:TH_LOAD_LU ; 8-byte Folded Reload
	v_add_f64_e32 v[84:85], v[117:118], v[84:85]
	v_add_f64_e32 v[54:55], v[70:71], v[54:55]
	v_mul_f64_e32 v[70:71], s[18:19], v[151:152]
	v_add_f64_e64 v[78:79], v[78:79], -v[223:224]
	s_delay_alu instid0(VALU_DEP_3) | instskip(SKIP_3) | instid1(VALU_DEP_1)
	v_add_f64_e32 v[64:65], v[64:65], v[54:55]
	v_add_f64_e32 v[54:55], v[66:67], v[52:53]
	scratch_load_b64 v[66:67], off, off offset:332 th:TH_LOAD_LU ; 8-byte Folded Reload
	v_add_f64_e64 v[70:71], v[70:71], -v[195:196]
	v_add_f64_e32 v[52:53], v[70:71], v[64:65]
	scratch_load_b64 v[70:71], off, off offset:140 th:TH_LOAD_LU ; 8-byte Folded Reload
	v_mul_f64_e32 v[64:65], s[14:15], v[177:178]
	s_wait_loadcnt 0x1
	s_delay_alu instid0(VALU_DEP_1) | instskip(SKIP_1) | instid1(VALU_DEP_1)
	v_add_f64_e32 v[64:65], v[66:67], v[64:65]
	v_mul_f64_e32 v[66:67], s[10:11], v[149:150]
	v_add_f64_e32 v[66:67], v[68:69], v[66:67]
	v_mul_f64_e32 v[68:69], s[6:7], v[111:112]
	s_wait_loadcnt 0x0
	s_delay_alu instid0(VALU_DEP_1) | instskip(SKIP_1) | instid1(VALU_DEP_2)
	v_add_f64_e32 v[68:69], v[70:71], v[68:69]
	v_mul_f64_e32 v[70:71], s[6:7], v[109:110]
	v_add_f64_e32 v[60:61], v[68:69], v[60:61]
	s_delay_alu instid0(VALU_DEP_2) | instskip(SKIP_2) | instid1(VALU_DEP_4)
	v_add_f64_e64 v[70:71], v[70:71], -v[72:73]
	v_mul_f64_e32 v[72:73], s[10:11], v[145:146]
	v_mul_f64_e32 v[68:69], s[18:19], v[229:230]
	v_add_f64_e32 v[60:61], v[66:67], v[60:61]
	s_delay_alu instid0(VALU_DEP_4) | instskip(NEXT) | instid1(VALU_DEP_4)
	v_add_f64_e32 v[62:63], v[70:71], v[62:63]
	v_add_f64_e64 v[72:73], v[72:73], -v[74:75]
	v_mul_f64_e32 v[74:75], s[14:15], v[173:174]
	v_add_f64_e64 v[68:69], v[68:69], -v[251:252]
	v_mul_f64_e32 v[66:67], s[20:21], v[121:122]
	v_mul_f64_e32 v[70:71], s[22:23], v[153:154]
	v_add_f64_e32 v[60:61], v[64:65], v[60:61]
	v_mul_f64_e32 v[64:65], s[20:21], v[119:120]
	v_add_f64_e32 v[62:63], v[72:73], v[62:63]
	v_add_f64_e64 v[74:75], v[74:75], -v[76:77]
	v_mul_f64_e32 v[76:77], s[16:17], v[203:204]
	v_add_f64_e32 v[66:67], v[141:142], v[66:67]
	v_add_f64_e32 v[70:71], v[181:182], v[70:71]
	v_add_f64_e64 v[64:65], v[64:65], -v[139:140]
	v_add_f64_e32 v[62:63], v[74:75], v[62:63]
	v_add_f64_e32 v[76:77], v[225:226], v[76:77]
	s_delay_alu instid0(VALU_DEP_2) | instskip(NEXT) | instid1(VALU_DEP_2)
	v_add_f64_e32 v[62:63], v[78:79], v[62:63]
	v_add_f64_e32 v[60:61], v[76:77], v[60:61]
	s_delay_alu instid0(VALU_DEP_2) | instskip(NEXT) | instid1(VALU_DEP_2)
	v_add_f64_e32 v[62:63], v[68:69], v[62:63]
	v_add_f64_e32 v[60:61], v[84:85], v[60:61]
	v_mul_f64_e32 v[68:69], s[22:23], v[151:152]
	s_delay_alu instid0(VALU_DEP_3) | instskip(NEXT) | instid1(VALU_DEP_3)
	v_add_f64_e32 v[64:65], v[64:65], v[62:63]
	v_add_f64_e32 v[60:61], v[66:67], v[60:61]
	s_delay_alu instid0(VALU_DEP_3) | instskip(NEXT) | instid1(VALU_DEP_2)
	v_add_f64_e64 v[68:69], v[68:69], -v[175:176]
	v_add_f64_e32 v[62:63], v[70:71], v[60:61]
	s_delay_alu instid0(VALU_DEP_2) | instskip(SKIP_1) | instid1(VALU_DEP_1)
	v_add_f64_e32 v[60:61], v[68:69], v[64:65]
	v_and_b32_e32 v64, 0xffff, v199
	v_add_lshl_u32 v64, v211, v64, 4
	ds_store_b128 v64, v[40:43] offset:32
	ds_store_b128 v64, v[44:47] offset:48
	;; [unrolled: 1-line block ×6, first 2 shown]
	ds_store_b128 v64, v[36:39]
	ds_store_b128 v64, v[56:59] offset:128
	ds_store_b128 v64, v[80:83] offset:144
	;; [unrolled: 1-line block ×10, first 2 shown]
.LBB0_7:
	s_wait_alu 0xfffe
	s_or_b32 exec_lo, exec_lo, s24
	v_mul_u32_u24_e32 v24, 6, v255
	s_load_b128 s[0:3], s[2:3], 0x0
	global_wb scope:SCOPE_SE
	s_wait_dscnt 0x0
	s_wait_kmcnt 0x0
	s_barrier_signal -1
	s_barrier_wait -1
	v_lshlrev_b32_e32 v24, 4, v24
	global_inv scope:SCOPE_SE
	v_add_lshl_u32 v209, v211, v255, 4
	s_mov_b32 s6, 0x36b3c0b5
	s_mov_b32 s10, 0xe976ee23
	s_clause 0x5
	global_load_b128 v[40:43], v24, s[4:5]
	global_load_b128 v[169:172], v24, s[4:5] offset:16
	global_load_b128 v[44:47], v24, s[4:5] offset:80
	;; [unrolled: 1-line block ×5, first 2 shown]
	ds_load_b128 v[60:63], v209 offset:272
	ds_load_b128 v[64:67], v209 offset:544
	;; [unrolled: 1-line block ×6, first 2 shown]
	scratch_load_b32 v24, off, off          ; 4-byte Folded Reload
	s_mov_b32 s4, 0x37e14327
	s_mov_b32 s5, 0x3fe948f6
	;; [unrolled: 1-line block ×8, first 2 shown]
	s_wait_loadcnt_dscnt 0x605
	v_mul_f64_e32 v[88:89], v[62:63], v[42:43]
	v_mul_f64_e32 v[90:91], v[60:61], v[42:43]
	s_wait_loadcnt_dscnt 0x504
	v_mul_f64_e32 v[92:93], v[66:67], v[171:172]
	v_mul_f64_e32 v[94:95], v[64:65], v[171:172]
	;; [unrolled: 3-line block ×6, first 2 shown]
	s_wait_loadcnt 0x0
	v_lshl_add_u32 v104, v255, 4, v24
	v_fma_f64 v[60:61], v[60:61], v[40:41], -v[88:89]
	v_fma_f64 v[62:63], v[62:63], v[40:41], v[90:91]
	v_fma_f64 v[64:65], v[64:65], v[169:170], -v[92:93]
	v_fma_f64 v[66:67], v[66:67], v[169:170], v[94:95]
	;; [unrolled: 2-line block ×6, first 2 shown]
	v_add_f64_e32 v[88:89], v[60:61], v[68:69]
	v_add_f64_e32 v[90:91], v[62:63], v[70:71]
	;; [unrolled: 1-line block ×4, first 2 shown]
	v_add_f64_e64 v[64:65], v[64:65], -v[72:73]
	v_add_f64_e64 v[66:67], v[66:67], -v[74:75]
	v_add_f64_e32 v[96:97], v[76:77], v[84:85]
	v_add_f64_e32 v[98:99], v[78:79], v[86:87]
	v_add_f64_e64 v[72:73], v[84:85], -v[76:77]
	v_add_f64_e64 v[74:75], v[86:87], -v[78:79]
	;; [unrolled: 1-line block ×4, first 2 shown]
	v_add_f64_e32 v[60:61], v[92:93], v[88:89]
	v_add_f64_e32 v[62:63], v[94:95], v[90:91]
	v_add_f64_e64 v[76:77], v[88:89], -v[96:97]
	v_add_f64_e64 v[78:79], v[90:91], -v[98:99]
	v_add_f64_e64 v[84:85], v[96:97], -v[92:93]
	v_add_f64_e64 v[86:87], v[98:99], -v[94:95]
	v_add_f64_e64 v[100:101], v[72:73], -v[64:65]
	v_add_f64_e64 v[102:103], v[74:75], -v[66:67]
	v_add_f64_e64 v[106:107], v[64:65], -v[68:69]
	v_add_f64_e64 v[109:110], v[66:67], -v[70:71]
	v_add_f64_e64 v[88:89], v[92:93], -v[88:89]
	v_add_f64_e64 v[90:91], v[94:95], -v[90:91]
	v_add_f64_e32 v[64:65], v[72:73], v[64:65]
	v_add_f64_e32 v[66:67], v[74:75], v[66:67]
	v_add_f64_e64 v[72:73], v[68:69], -v[72:73]
	v_add_f64_e64 v[74:75], v[70:71], -v[74:75]
	v_add_f64_e32 v[96:97], v[96:97], v[60:61]
	v_add_f64_e32 v[98:99], v[98:99], v[62:63]
	ds_load_b128 v[60:63], v209
	s_wait_alu 0xfffe
	v_mul_f64_e32 v[76:77], s[4:5], v[76:77]
	v_mul_f64_e32 v[78:79], s[4:5], v[78:79]
	s_mov_b32 s4, 0x429ad128
	v_mul_f64_e32 v[92:93], s[6:7], v[84:85]
	v_mul_f64_e32 v[94:95], s[6:7], v[86:87]
	;; [unrolled: 1-line block ×4, first 2 shown]
	s_mov_b32 s5, 0x3febfeb5
	s_mov_b32 s10, 0xaaaaaaaa
	s_wait_alu 0xfffe
	v_mul_f64_e32 v[111:112], s[4:5], v[106:107]
	v_mul_f64_e32 v[113:114], s[4:5], v[109:110]
	s_mov_b32 s11, 0xbff2aaaa
	v_add_f64_e32 v[64:65], v[64:65], v[68:69]
	v_add_f64_e32 v[66:67], v[66:67], v[70:71]
	s_wait_dscnt 0x0
	v_add_f64_e32 v[60:61], v[60:61], v[96:97]
	v_add_f64_e32 v[62:63], v[62:63], v[98:99]
	v_fma_f64 v[68:69], v[84:85], s[6:7], v[76:77]
	v_fma_f64 v[70:71], v[86:87], s[6:7], v[78:79]
	v_fma_f64 v[84:85], v[88:89], s[14:15], -v[92:93]
	v_fma_f64 v[86:87], v[90:91], s[14:15], -v[94:95]
	s_mov_b32 s15, 0xbfe77f67
	v_fma_f64 v[92:93], v[72:73], s[16:17], v[100:101]
	v_fma_f64 v[94:95], v[74:75], s[16:17], v[102:103]
	s_mov_b32 s17, 0xbfd5d0dc
	v_fma_f64 v[100:101], v[106:107], s[4:5], -v[100:101]
	v_fma_f64 v[102:103], v[109:110], s[4:5], -v[102:103]
	s_wait_alu 0xfffe
	v_fma_f64 v[72:73], v[72:73], s[16:17], -v[111:112]
	v_fma_f64 v[74:75], v[74:75], s[16:17], -v[113:114]
	;; [unrolled: 1-line block ×4, first 2 shown]
	s_mov_b32 s4, 0x37c3f68c
	s_mov_b32 s5, 0x3fdc38aa
	v_fma_f64 v[96:97], v[96:97], s[10:11], v[60:61]
	v_fma_f64 v[98:99], v[98:99], s[10:11], v[62:63]
	s_wait_alu 0xfffe
	v_fma_f64 v[90:91], v[64:65], s[4:5], v[92:93]
	v_fma_f64 v[88:89], v[66:67], s[4:5], v[94:95]
	;; [unrolled: 1-line block ×6, first 2 shown]
	v_add_f64_e32 v[106:107], v[68:69], v[96:97]
	v_add_f64_e32 v[109:110], v[70:71], v[98:99]
	;; [unrolled: 1-line block ×7, first 2 shown]
	v_add_f64_e64 v[66:67], v[109:110], -v[90:91]
	v_add_f64_e32 v[68:69], v[102:103], v[111:112]
	v_add_f64_e64 v[70:71], v[113:114], -v[100:101]
	v_add_f64_e64 v[72:73], v[76:77], -v[94:95]
	v_add_f64_e32 v[74:75], v[92:93], v[78:79]
	v_add_f64_e32 v[76:77], v[94:95], v[76:77]
	v_add_f64_e64 v[78:79], v[78:79], -v[92:93]
	v_add_f64_e64 v[84:85], v[111:112], -v[102:103]
	v_add_f64_e32 v[86:87], v[100:101], v[113:114]
	v_add_f64_e64 v[88:89], v[106:107], -v[88:89]
	v_add_f64_e32 v[90:91], v[90:91], v[109:110]
	ds_store_b128 v104, v[60:63]
	ds_store_b128 v104, v[64:67] offset:272
	ds_store_b128 v104, v[68:71] offset:544
	;; [unrolled: 1-line block ×6, first 2 shown]
	global_wb scope:SCOPE_SE
	s_wait_dscnt 0x0
	s_barrier_signal -1
	s_barrier_wait -1
	global_inv scope:SCOPE_SE
	s_and_saveexec_b32 s6, vcc_lo
	s_cbranch_execz .LBB0_9
; %bb.8:
	global_load_b128 v[92:95], v220, s[8:9] offset:1904
	s_add_nc_u64 s[4:5], s[8:9], 0x770
	s_clause 0x3
	global_load_b128 v[96:99], v220, s[4:5] offset:112
	global_load_b128 v[100:103], v220, s[4:5] offset:224
	;; [unrolled: 1-line block ×4, first 2 shown]
	ds_load_b128 v[117:120], v104
	ds_load_b128 v[121:124], v104 offset:112
	ds_load_b128 v[125:128], v104 offset:224
	global_load_b128 v[129:132], v220, s[4:5] offset:560
	s_wait_loadcnt_dscnt 0x401
	v_mul_f64_e32 v[133:134], v[123:124], v[98:99]
	v_mul_f64_e32 v[106:107], v[119:120], v[94:95]
	;; [unrolled: 1-line block ×4, first 2 shown]
	s_delay_alu instid0(VALU_DEP_4) | instskip(NEXT) | instid1(VALU_DEP_4)
	v_fma_f64 v[121:122], v[121:122], v[96:97], -v[133:134]
	v_fma_f64 v[117:118], v[117:118], v[92:93], -v[106:107]
	s_delay_alu instid0(VALU_DEP_4)
	v_fma_f64 v[119:120], v[119:120], v[92:93], v[94:95]
	ds_load_b128 v[92:95], v104 offset:336
	v_fma_f64 v[123:124], v[123:124], v[96:97], v[98:99]
	s_wait_loadcnt_dscnt 0x301
	v_mul_f64_e32 v[96:97], v[127:128], v[102:103]
	v_mul_f64_e32 v[98:99], v[125:126], v[102:103]
	s_wait_loadcnt_dscnt 0x200
	v_mul_f64_e32 v[106:107], v[94:95], v[111:112]
	v_mul_f64_e32 v[111:112], v[92:93], v[111:112]
	s_delay_alu instid0(VALU_DEP_4) | instskip(NEXT) | instid1(VALU_DEP_4)
	v_fma_f64 v[96:97], v[125:126], v[100:101], -v[96:97]
	v_fma_f64 v[98:99], v[127:128], v[100:101], v[98:99]
	ds_load_b128 v[100:103], v104 offset:448
	ds_load_b128 v[125:128], v104 offset:560
	v_fma_f64 v[92:93], v[92:93], v[109:110], -v[106:107]
	v_fma_f64 v[94:95], v[94:95], v[109:110], v[111:112]
	global_load_b128 v[109:112], v220, s[4:5] offset:672
	s_wait_loadcnt_dscnt 0x201
	v_mul_f64_e32 v[106:107], v[102:103], v[115:116]
	v_mul_f64_e32 v[115:116], v[100:101], v[115:116]
	s_delay_alu instid0(VALU_DEP_2) | instskip(NEXT) | instid1(VALU_DEP_2)
	v_fma_f64 v[100:101], v[100:101], v[113:114], -v[106:107]
	v_fma_f64 v[102:103], v[102:103], v[113:114], v[115:116]
	global_load_b128 v[113:116], v220, s[4:5] offset:784
	s_wait_loadcnt_dscnt 0x200
	v_mul_f64_e32 v[106:107], v[127:128], v[131:132]
	v_mul_f64_e32 v[131:132], v[125:126], v[131:132]
	s_delay_alu instid0(VALU_DEP_2) | instskip(NEXT) | instid1(VALU_DEP_2)
	v_fma_f64 v[125:126], v[125:126], v[129:130], -v[106:107]
	v_fma_f64 v[127:128], v[127:128], v[129:130], v[131:132]
	ds_load_b128 v[129:132], v104 offset:672
	ds_load_b128 v[133:136], v104 offset:784
	s_wait_loadcnt_dscnt 0x101
	v_mul_f64_e32 v[106:107], v[131:132], v[111:112]
	v_mul_f64_e32 v[111:112], v[129:130], v[111:112]
	s_delay_alu instid0(VALU_DEP_2) | instskip(NEXT) | instid1(VALU_DEP_2)
	v_fma_f64 v[129:130], v[129:130], v[109:110], -v[106:107]
	v_fma_f64 v[131:132], v[131:132], v[109:110], v[111:112]
	s_wait_loadcnt_dscnt 0x0
	v_mul_f64_e32 v[106:107], v[135:136], v[115:116]
	v_mul_f64_e32 v[111:112], v[133:134], v[115:116]
	s_delay_alu instid0(VALU_DEP_2) | instskip(NEXT) | instid1(VALU_DEP_2)
	v_fma_f64 v[109:110], v[133:134], v[113:114], -v[106:107]
	v_fma_f64 v[111:112], v[135:136], v[113:114], v[111:112]
	s_clause 0x1
	global_load_b128 v[113:116], v220, s[4:5] offset:896
	global_load_b128 v[133:136], v220, s[4:5] offset:1008
	ds_load_b128 v[137:140], v104 offset:896
	ds_load_b128 v[141:144], v104 offset:1008
	s_wait_loadcnt_dscnt 0x101
	v_mul_f64_e32 v[106:107], v[139:140], v[115:116]
	v_mul_f64_e32 v[115:116], v[137:138], v[115:116]
	s_delay_alu instid0(VALU_DEP_2) | instskip(NEXT) | instid1(VALU_DEP_2)
	v_fma_f64 v[137:138], v[137:138], v[113:114], -v[106:107]
	v_fma_f64 v[139:140], v[139:140], v[113:114], v[115:116]
	s_wait_loadcnt_dscnt 0x0
	v_mul_f64_e32 v[106:107], v[143:144], v[135:136]
	v_mul_f64_e32 v[115:116], v[141:142], v[135:136]
	s_delay_alu instid0(VALU_DEP_2) | instskip(NEXT) | instid1(VALU_DEP_2)
	v_fma_f64 v[113:114], v[141:142], v[133:134], -v[106:107]
	v_fma_f64 v[115:116], v[143:144], v[133:134], v[115:116]
	s_clause 0x1
	global_load_b128 v[133:136], v220, s[4:5] offset:1120
	global_load_b128 v[141:144], v220, s[4:5] offset:1232
	;; [unrolled: 17-line block ×4, first 2 shown]
	ds_load_b128 v[161:164], v104 offset:1568
	ds_load_b128 v[165:168], v104 offset:1680
	s_wait_loadcnt_dscnt 0x101
	v_mul_f64_e32 v[106:107], v[163:164], v[151:152]
	v_mul_f64_e32 v[151:152], v[161:162], v[151:152]
	s_delay_alu instid0(VALU_DEP_2) | instskip(NEXT) | instid1(VALU_DEP_2)
	v_fma_f64 v[161:162], v[161:162], v[149:150], -v[106:107]
	v_fma_f64 v[163:164], v[163:164], v[149:150], v[151:152]
	s_wait_loadcnt_dscnt 0x0
	v_mul_f64_e32 v[106:107], v[167:168], v[159:160]
	v_mul_f64_e32 v[151:152], v[165:166], v[159:160]
	s_delay_alu instid0(VALU_DEP_2) | instskip(NEXT) | instid1(VALU_DEP_2)
	v_fma_f64 v[149:150], v[165:166], v[157:158], -v[106:107]
	v_fma_f64 v[151:152], v[167:168], v[157:158], v[151:152]
	global_load_b128 v[157:160], v220, s[4:5] offset:1792
	ds_load_b128 v[165:168], v104 offset:1792
	s_wait_loadcnt_dscnt 0x0
	v_mul_f64_e32 v[106:107], v[167:168], v[159:160]
	v_mul_f64_e32 v[159:160], v[165:166], v[159:160]
	s_delay_alu instid0(VALU_DEP_2) | instskip(NEXT) | instid1(VALU_DEP_2)
	v_fma_f64 v[165:166], v[165:166], v[157:158], -v[106:107]
	v_fma_f64 v[167:168], v[167:168], v[157:158], v[159:160]
	ds_store_b128 v104, v[117:120]
	ds_store_b128 v104, v[121:124] offset:112
	ds_store_b128 v104, v[96:99] offset:224
	ds_store_b128 v104, v[92:95] offset:336
	ds_store_b128 v104, v[100:103] offset:448
	ds_store_b128 v104, v[125:128] offset:560
	ds_store_b128 v104, v[129:132] offset:672
	ds_store_b128 v104, v[109:112] offset:784
	ds_store_b128 v104, v[137:140] offset:896
	ds_store_b128 v104, v[113:116] offset:1008
	ds_store_b128 v104, v[145:148] offset:1120
	ds_store_b128 v104, v[133:136] offset:1232
	ds_store_b128 v104, v[153:156] offset:1344
	ds_store_b128 v104, v[141:144] offset:1456
	ds_store_b128 v104, v[161:164] offset:1568
	ds_store_b128 v104, v[149:152] offset:1680
	ds_store_b128 v104, v[165:168] offset:1792
.LBB0_9:
	s_wait_alu 0xfffe
	s_or_b32 exec_lo, exec_lo, s6
	scratch_store_b32 off, v255, off offset:4 ; 4-byte Folded Spill
	global_wb scope:SCOPE_SE
	s_wait_storecnt_dscnt 0x0
	s_barrier_signal -1
	s_barrier_wait -1
	global_inv scope:SCOPE_SE
	s_and_saveexec_b32 s4, vcc_lo
	s_cbranch_execz .LBB0_11
; %bb.10:
	ds_load_b128 v[60:63], v104
	ds_load_b128 v[64:67], v104 offset:112
	ds_load_b128 v[68:71], v104 offset:224
	;; [unrolled: 1-line block ×16, first 2 shown]
.LBB0_11:
	s_wait_alu 0xfffe
	s_or_b32 exec_lo, exec_lo, s4
	global_wb scope:SCOPE_SE
	s_wait_dscnt 0x0
	s_barrier_signal -1
	s_barrier_wait -1
	global_inv scope:SCOPE_SE
	s_and_saveexec_b32 s33, vcc_lo
	s_cbranch_execz .LBB0_13
; %bb.12:
	v_add_f64_e32 v[94:95], v[64:65], v[60:61]
	v_add_f64_e32 v[92:93], v[66:67], v[62:63]
	v_add_f64_e64 v[96:97], v[58:59], -v[82:83]
	v_add_f64_e64 v[102:103], v[68:69], -v[4:5]
	s_mov_b32 s24, 0x6c9a05f6
	s_mov_b32 s25, 0xbfe9895b
	;; [unrolled: 1-line block ×11, first 2 shown]
	s_wait_alu 0xfffe
	s_mov_b32 s42, s26
	s_mov_b32 s16, 0x3259b75e
	s_mov_b32 s17, 0x3fb79ee6
	s_mov_b32 s44, 0x7c9e640b
	s_mov_b32 s45, 0x3feca52d
	s_mov_b32 s37, 0xbfeca52d
	s_wait_alu 0xfffe
	s_mov_b32 s36, s44
	s_mov_b32 s18, 0x2b2883cd
	s_mov_b32 s19, 0x3fdc86fa
	s_mov_b32 s34, 0x2a9d6da3
	s_mov_b32 s35, 0x3fe58eea
	s_mov_b32 s49, 0xbfe58eea
	;; [unrolled: 7-line block ×3, first 2 shown]
	s_mov_b32 s31, 0xbfc7851a
	s_mov_b32 s39, 0xbfe0d888
	;; [unrolled: 1-line block ×4, first 2 shown]
	s_wait_alu 0xfffe
	s_mov_b32 s28, s40
	v_add_f64_e32 v[94:95], v[68:69], v[94:95]
	v_add_f64_e32 v[92:93], v[70:71], v[92:93]
	v_add_f64_e32 v[68:69], v[68:69], v[4:5]
	s_mov_b32 s6, 0x910ea3b9
	s_mov_b32 s4, 0x7faef3
	;; [unrolled: 1-line block ×6, first 2 shown]
	v_dual_mov_b32 v36, v169 :: v_dual_mov_b32 v37, v170
	v_dual_mov_b32 v38, v171 :: v_dual_mov_b32 v39, v172
	v_mul_f64_e32 v[179:180], s[26:27], v[96:97]
	s_mov_b32 s51, 0x3fe9895b
	s_mov_b32 s50, s24
	;; [unrolled: 1-line block ×4, first 2 shown]
	v_dual_mov_b32 v48, v181 :: v_dual_mov_b32 v49, v182
	v_dual_mov_b32 v50, v183 :: v_dual_mov_b32 v51, v184
	v_mul_f64_e32 v[181:182], s[44:45], v[96:97]
	v_mul_f64_e32 v[212:213], s[30:31], v[96:97]
	;; [unrolled: 1-line block ×3, first 2 shown]
	v_dual_mov_b32 v108, v220 :: v_dual_mov_b32 v105, v253
	v_mul_f64_e32 v[240:241], s[40:41], v[96:97]
	v_mul_f64_e32 v[242:243], s[24:25], v[102:103]
	v_mov_b32_e32 v255, v199
	v_add_f64_e32 v[94:95], v[72:73], v[94:95]
	v_add_f64_e32 v[92:93], v[74:75], v[92:93]
	s_delay_alu instid0(VALU_DEP_2) | instskip(NEXT) | instid1(VALU_DEP_2)
	v_add_f64_e32 v[94:95], v[76:77], v[94:95]
	v_add_f64_e32 v[92:93], v[78:79], v[92:93]
	s_delay_alu instid0(VALU_DEP_2) | instskip(NEXT) | instid1(VALU_DEP_2)
	;; [unrolled: 3-line block ×5, first 2 shown]
	v_add_f64_e32 v[100:101], v[94:95], v[56:57]
	v_add_f64_e32 v[98:99], v[92:93], v[58:59]
	;; [unrolled: 1-line block ×4, first 2 shown]
	v_add_f64_e64 v[94:95], v[56:57], -v[80:81]
	v_add_f64_e32 v[56:57], v[56:57], v[80:81]
	v_add_f64_e32 v[100:101], v[100:101], v[80:81]
	;; [unrolled: 1-line block ×3, first 2 shown]
	v_add_f64_e64 v[82:83], v[30:31], -v[34:35]
	v_add_f64_e64 v[80:81], v[28:29], -v[32:33]
	v_add_f64_e32 v[28:29], v[28:29], v[32:33]
	v_add_f64_e32 v[30:31], v[88:89], v[20:21]
	v_mul_f64_e32 v[177:178], s[26:27], v[94:95]
	v_mul_f64_e32 v[26:27], s[30:31], v[94:95]
	;; [unrolled: 1-line block ×5, first 2 shown]
	v_add_f64_e32 v[100:101], v[100:101], v[32:33]
	v_add_f64_e32 v[34:35], v[98:99], v[34:35]
	v_add_f64_e64 v[98:99], v[88:89], -v[20:21]
	v_add_f64_e32 v[32:33], v[90:91], v[22:23]
	v_add_f64_e64 v[88:89], v[90:91], -v[22:23]
	v_add_f64_e64 v[90:91], v[84:85], -v[16:17]
	v_mul_f64_e32 v[234:235], s[44:45], v[80:81]
	v_mul_f64_e32 v[236:237], s[44:45], v[82:83]
	;; [unrolled: 1-line block ×4, first 2 shown]
	s_wait_alu 0xfffe
	v_mul_f64_e32 v[201:202], s[50:51], v[80:81]
	v_mul_f64_e32 v[167:168], s[50:51], v[82:83]
	;; [unrolled: 1-line block ×3, first 2 shown]
	v_add_f64_e32 v[100:101], v[100:101], v[20:21]
	v_add_f64_e32 v[34:35], v[34:35], v[22:23]
	;; [unrolled: 1-line block ×4, first 2 shown]
	v_add_f64_e64 v[84:85], v[86:87], -v[18:19]
	v_add_f64_e64 v[86:87], v[76:77], -v[12:13]
	v_mul_f64_e32 v[230:231], s[52:53], v[98:99]
	v_mul_f64_e32 v[232:233], s[52:53], v[88:89]
	;; [unrolled: 1-line block ×5, first 2 shown]
	v_add_f64_e32 v[100:101], v[100:101], v[16:17]
	v_add_f64_e32 v[34:35], v[34:35], v[18:19]
	;; [unrolled: 1-line block ×4, first 2 shown]
	v_add_f64_e64 v[78:79], v[78:79], -v[14:15]
	v_add_f64_e32 v[76:77], v[74:75], v[10:11]
	v_mul_f64_e32 v[222:223], s[30:31], v[86:87]
	v_mul_f64_e32 v[248:249], s[52:53], v[86:87]
	;; [unrolled: 1-line block ×4, first 2 shown]
	v_add_f64_e32 v[12:13], v[100:101], v[12:13]
	v_add_f64_e32 v[14:15], v[34:35], v[14:15]
	v_add_f64_e64 v[100:101], v[72:73], -v[8:9]
	v_add_f64_e32 v[34:35], v[72:73], v[8:9]
	v_add_f64_e64 v[72:73], v[74:75], -v[10:11]
	v_add_f64_e64 v[74:75], v[70:71], -v[6:7]
	v_add_f64_e32 v[70:71], v[70:71], v[6:7]
	v_mul_f64_e32 v[224:225], s[30:31], v[78:79]
	v_mul_f64_e32 v[250:251], s[52:53], v[78:79]
	;; [unrolled: 1-line block ×4, first 2 shown]
	v_add_f64_e32 v[8:9], v[12:13], v[8:9]
	v_add_f64_e32 v[10:11], v[14:15], v[10:11]
	;; [unrolled: 1-line block ×4, first 2 shown]
	v_mul_f64_e32 v[163:164], s[36:37], v[72:73]
	v_mul_f64_e32 v[216:217], s[42:43], v[74:75]
	;; [unrolled: 1-line block ×6, first 2 shown]
	v_add_f64_e32 v[4:5], v[8:9], v[4:5]
	v_add_f64_e64 v[8:9], v[64:65], -v[0:1]
	v_add_f64_e32 v[6:7], v[10:11], v[6:7]
	v_add_f64_e64 v[10:11], v[66:67], -v[2:3]
	s_delay_alu instid0(VALU_DEP_4) | instskip(NEXT) | instid1(VALU_DEP_4)
	v_add_f64_e32 v[0:1], v[4:5], v[0:1]
	v_mul_f64_e32 v[64:65], s[24:25], v[8:9]
	s_delay_alu instid0(VALU_DEP_4) | instskip(NEXT) | instid1(VALU_DEP_4)
	v_add_f64_e32 v[2:3], v[6:7], v[2:3]
	v_mul_f64_e32 v[131:132], s[24:25], v[10:11]
	v_mul_f64_e32 v[66:67], s[46:47], v[8:9]
	;; [unrolled: 1-line block ×13, first 2 shown]
	v_fma_f64 v[117:118], v[12:13], s[10:11], v[64:65]
	v_fma_f64 v[64:65], v[12:13], s[10:11], -v[64:65]
	scratch_store_b128 off, v[0:3], off offset:12 ; 16-byte Folded Spill
	v_fma_f64 v[145:146], v[14:15], s[10:11], -v[131:132]
	v_fma_f64 v[131:132], v[14:15], s[10:11], v[131:132]
	v_fma_f64 v[119:120], v[12:13], s[14:15], v[66:67]
	v_fma_f64 v[147:148], v[14:15], s[14:15], -v[133:134]
	v_fma_f64 v[121:122], v[12:13], s[16:17], v[106:107]
	v_fma_f64 v[149:150], v[14:15], s[16:17], -v[135:136]
	v_fma_f64 v[123:124], v[12:13], s[18:19], -v[109:110]
	v_fma_f64 v[109:110], v[12:13], s[18:19], v[109:110]
	v_fma_f64 v[151:152], v[14:15], s[18:19], v[137:138]
	v_fma_f64 v[137:138], v[14:15], s[18:19], -v[137:138]
	v_fma_f64 v[125:126], v[12:13], s[20:21], -v[111:112]
	v_fma_f64 v[111:112], v[12:13], s[20:21], v[111:112]
	v_fma_f64 v[153:154], v[14:15], s[20:21], v[139:140]
	v_fma_f64 v[139:140], v[14:15], s[20:21], -v[139:140]
	v_fma_f64 v[113:114], v[12:13], s[4:5], v[4:5]
	v_fma_f64 v[4:5], v[12:13], s[4:5], -v[4:5]
	;; [unrolled: 2-line block ×3, first 2 shown]
	v_fma_f64 v[66:67], v[12:13], s[14:15], -v[66:67]
	v_fma_f64 v[106:107], v[12:13], s[16:17], -v[106:107]
	;; [unrolled: 1-line block ×3, first 2 shown]
	v_fma_f64 v[8:9], v[12:13], s[22:23], v[8:9]
	v_mul_f64_e32 v[12:13], s[30:31], v[10:11]
	v_mul_f64_e32 v[10:11], s[28:29], v[10:11]
	v_fma_f64 v[143:144], v[14:15], s[6:7], -v[129:130]
	v_fma_f64 v[129:130], v[14:15], s[6:7], v[129:130]
	v_fma_f64 v[133:134], v[14:15], s[14:15], v[133:134]
	;; [unrolled: 1-line block ×3, first 2 shown]
	v_add_f64_e32 v[117:118], v[62:63], v[117:118]
	v_add_f64_e32 v[0:1], v[62:63], v[64:65]
	;; [unrolled: 1-line block ×7, first 2 shown]
	v_fma_f64 v[141:142], v[14:15], s[4:5], -v[12:13]
	v_fma_f64 v[12:13], v[14:15], s[4:5], v[12:13]
	v_fma_f64 v[155:156], v[14:15], s[22:23], v[10:11]
	v_fma_f64 v[10:11], v[14:15], s[22:23], -v[10:11]
	v_add_f64_e32 v[14:15], v[62:63], v[113:114]
	v_add_f64_e32 v[143:144], v[60:61], v[143:144]
	;; [unrolled: 1-line block ×4, first 2 shown]
	v_mul_f64_e32 v[133:134], s[38:39], v[80:81]
	scratch_store_b64 off, v[0:1], off offset:164 ; 8-byte Folded Spill
	v_add_f64_e32 v[0:1], v[60:61], v[131:132]
	v_add_f64_e32 v[131:132], v[60:61], v[135:136]
	;; [unrolled: 1-line block ×7, first 2 shown]
	scratch_store_b64 off, v[0:1], off offset:156 ; 8-byte Folded Spill
	v_add_f64_e32 v[0:1], v[62:63], v[119:120]
	v_add_f64_e32 v[119:120], v[62:63], v[127:128]
	;; [unrolled: 1-line block ×3, first 2 shown]
	v_mul_f64_e32 v[151:152], s[38:39], v[98:99]
	scratch_store_b64 off, v[0:1], off offset:148 ; 8-byte Folded Spill
	v_add_f64_e32 v[0:1], v[60:61], v[147:148]
	v_mul_f64_e32 v[147:148], s[42:43], v[78:79]
	scratch_store_b64 off, v[0:1], off offset:140 ; 8-byte Folded Spill
	v_add_f64_e32 v[0:1], v[62:63], v[121:122]
	v_add_f64_e32 v[121:122], v[62:63], v[125:126]
	v_add_f64_e32 v[125:126], v[60:61], v[153:154]
	scratch_store_b64 off, v[0:1], off offset:132 ; 8-byte Folded Spill
	v_add_f64_e32 v[0:1], v[60:61], v[149:150]
	v_mul_f64_e32 v[149:150], s[42:43], v[86:87]
	scratch_store_b64 off, v[0:1], off offset:124 ; 8-byte Folded Spill
	v_add_f64_e32 v[0:1], v[62:63], v[109:110]
	scratch_store_b64 off, v[0:1], off offset:116 ; 8-byte Folded Spill
	v_add_f64_e32 v[0:1], v[60:61], v[137:138]
	v_mul_f64_e32 v[137:138], s[46:47], v[90:91]
	scratch_store_b64 off, v[0:1], off offset:108 ; 8-byte Folded Spill
	v_add_f64_e32 v[0:1], v[62:63], v[111:112]
	scratch_store_b64 off, v[0:1], off offset:84 ; 8-byte Folded Spill
	v_add_f64_e32 v[0:1], v[60:61], v[139:140]
	;; [unrolled: 2-line block ×3, first 2 shown]
	v_mul_f64_e32 v[8:9], s[40:41], v[102:103]
	scratch_store_b64 off, v[0:1], off offset:68 ; 8-byte Folded Spill
	v_fma_f64 v[4:5], v[70:71], s[22:23], v[8:9]
	v_add_f64_e32 v[0:1], v[60:61], v[10:11]
	v_mul_f64_e32 v[10:11], s[40:41], v[74:75]
	v_fma_f64 v[8:9], v[70:71], s[22:23], -v[8:9]
	v_mul_f64_e32 v[60:61], s[38:39], v[82:83]
	v_add_f64_e32 v[4:5], v[4:5], v[14:15]
	v_mul_f64_e32 v[14:15], s[38:39], v[100:101]
	v_fma_f64 v[6:7], v[68:69], s[22:23], -v[10:11]
	v_fma_f64 v[10:11], v[68:69], s[22:23], v[10:11]
	v_add_f64_e32 v[8:9], v[8:9], v[141:142]
	scratch_store_b64 off, v[0:1], off offset:60 ; 8-byte Folded Spill
	v_fma_f64 v[109:110], v[76:77], s[6:7], v[14:15]
	v_add_f64_e32 v[6:7], v[6:7], v[113:114]
	v_add_f64_e32 v[10:11], v[10:11], v[12:13]
	v_fma_f64 v[12:13], v[76:77], s[6:7], -v[14:15]
	v_fma_f64 v[14:15], v[56:57], s[16:17], v[179:180]
	v_add_f64_e32 v[4:5], v[109:110], v[4:5]
	v_mul_f64_e32 v[109:110], s[38:39], v[72:73]
	s_delay_alu instid0(VALU_DEP_4) | instskip(NEXT) | instid1(VALU_DEP_2)
	v_add_f64_e32 v[8:9], v[12:13], v[8:9]
	v_fma_f64 v[111:112], v[34:35], s[6:7], -v[109:110]
	v_fma_f64 v[12:13], v[34:35], s[6:7], v[109:110]
	v_mul_f64_e32 v[109:110], s[44:45], v[102:103]
	s_delay_alu instid0(VALU_DEP_3) | instskip(SKIP_1) | instid1(VALU_DEP_4)
	v_add_f64_e32 v[6:7], v[111:112], v[6:7]
	v_mul_f64_e32 v[111:112], s[34:35], v[86:87]
	v_add_f64_e32 v[10:11], v[12:13], v[10:11]
	s_delay_alu instid0(VALU_DEP_2) | instskip(SKIP_2) | instid1(VALU_DEP_3)
	v_fma_f64 v[113:114], v[18:19], s[20:21], v[111:112]
	v_fma_f64 v[12:13], v[18:19], s[20:21], -v[111:112]
	v_mul_f64_e32 v[111:112], s[44:45], v[74:75]
	v_add_f64_e32 v[4:5], v[113:114], v[4:5]
	v_mul_f64_e32 v[113:114], s[34:35], v[78:79]
	s_delay_alu instid0(VALU_DEP_4) | instskip(NEXT) | instid1(VALU_DEP_2)
	v_add_f64_e32 v[8:9], v[12:13], v[8:9]
	v_fma_f64 v[139:140], v[16:17], s[20:21], -v[113:114]
	v_fma_f64 v[12:13], v[16:17], s[20:21], v[113:114]
	v_mul_f64_e32 v[113:114], s[42:43], v[100:101]
	s_delay_alu instid0(VALU_DEP_3) | instskip(SKIP_1) | instid1(VALU_DEP_4)
	v_add_f64_e32 v[6:7], v[139:140], v[6:7]
	v_mul_f64_e32 v[139:140], s[24:25], v[90:91]
	v_add_f64_e32 v[10:11], v[12:13], v[10:11]
	s_delay_alu instid0(VALU_DEP_2) | instskip(SKIP_1) | instid1(VALU_DEP_2)
	v_fma_f64 v[153:154], v[22:23], s[10:11], v[139:140]
	v_fma_f64 v[12:13], v[22:23], s[10:11], -v[139:140]
	v_add_f64_e32 v[4:5], v[153:154], v[4:5]
	v_mul_f64_e32 v[153:154], s[24:25], v[84:85]
	s_delay_alu instid0(VALU_DEP_3) | instskip(NEXT) | instid1(VALU_DEP_2)
	v_add_f64_e32 v[8:9], v[12:13], v[8:9]
	v_fma_f64 v[155:156], v[20:21], s[10:11], -v[153:154]
	v_fma_f64 v[12:13], v[20:21], s[10:11], v[153:154]
	s_delay_alu instid0(VALU_DEP_2) | instskip(SKIP_1) | instid1(VALU_DEP_3)
	v_add_f64_e32 v[6:7], v[155:156], v[6:7]
	v_mul_f64_e32 v[155:156], s[44:45], v[98:99]
	v_add_f64_e32 v[10:11], v[12:13], v[10:11]
	s_delay_alu instid0(VALU_DEP_2) | instskip(SKIP_1) | instid1(VALU_DEP_2)
	v_fma_f64 v[169:170], v[32:33], s[18:19], v[155:156]
	v_fma_f64 v[12:13], v[32:33], s[18:19], -v[155:156]
	v_add_f64_e32 v[4:5], v[169:170], v[4:5]
	v_mul_f64_e32 v[169:170], s[44:45], v[88:89]
	s_delay_alu instid0(VALU_DEP_3) | instskip(NEXT) | instid1(VALU_DEP_2)
	v_add_f64_e32 v[8:9], v[12:13], v[8:9]
	v_fma_f64 v[171:172], v[30:31], s[18:19], -v[169:170]
	v_fma_f64 v[12:13], v[30:31], s[18:19], v[169:170]
	s_delay_alu instid0(VALU_DEP_2) | instskip(SKIP_1) | instid1(VALU_DEP_3)
	;; [unrolled: 13-line block ×3, first 2 shown]
	v_add_f64_e32 v[175:176], v[175:176], v[6:7]
	v_fma_f64 v[6:7], v[92:93], s[16:17], v[177:178]
	v_add_f64_e32 v[12:13], v[12:13], v[10:11]
	v_fma_f64 v[10:11], v[92:93], s[16:17], -v[177:178]
	v_mul_f64_e32 v[177:178], s[46:47], v[94:95]
	s_delay_alu instid0(VALU_DEP_4) | instskip(SKIP_3) | instid1(VALU_DEP_3)
	v_add_f64_e32 v[2:3], v[6:7], v[4:5]
	v_fma_f64 v[4:5], v[56:57], s[16:17], -v[179:180]
	v_mul_f64_e32 v[179:180], s[46:47], v[96:97]
	v_fma_f64 v[6:7], v[28:29], s[16:17], v[183:184]
	v_add_f64_e32 v[0:1], v[4:5], v[175:176]
	v_mul_f64_e32 v[4:5], s[28:29], v[98:99]
	scratch_store_b128 off, v[0:3], off offset:28 ; 16-byte Folded Spill
	v_add_f64_e32 v[0:1], v[14:15], v[12:13]
	v_fma_f64 v[12:13], v[70:71], s[18:19], v[109:110]
	v_fma_f64 v[14:15], v[68:69], s[18:19], -v[111:112]
	v_fma_f64 v[109:110], v[70:71], s[18:19], -v[109:110]
	v_fma_f64 v[111:112], v[68:69], s[18:19], v[111:112]
	v_add_f64_e32 v[2:3], v[10:11], v[8:9]
	v_fma_f64 v[10:11], v[92:93], s[6:7], -v[52:53]
	v_mul_f64_e32 v[8:9], s[40:41], v[86:87]
	v_add_f64_e32 v[12:13], v[12:13], v[115:116]
	v_fma_f64 v[115:116], v[76:77], s[16:17], v[113:114]
	v_add_f64_e32 v[14:15], v[14:15], v[143:144]
	v_add_f64_e32 v[109:110], v[109:110], v[157:158]
	v_fma_f64 v[113:114], v[76:77], s[16:17], -v[113:114]
	v_add_f64_e32 v[111:112], v[111:112], v[129:130]
	v_mul_f64_e32 v[157:158], s[26:27], v[90:91]
	scratch_store_b128 off, v[0:3], off offset:44 ; 16-byte Folded Spill
	v_add_f64_e32 v[12:13], v[115:116], v[12:13]
	v_mul_f64_e32 v[115:116], s[42:43], v[72:73]
	v_add_f64_e32 v[109:110], v[113:114], v[109:110]
	s_delay_alu instid0(VALU_DEP_2) | instskip(SKIP_2) | instid1(VALU_DEP_3)
	v_fma_f64 v[139:140], v[34:35], s[16:17], -v[115:116]
	v_fma_f64 v[113:114], v[34:35], s[16:17], v[115:116]
	v_fma_f64 v[115:116], v[56:57], s[14:15], v[179:180]
	v_add_f64_e32 v[14:15], v[139:140], v[14:15]
	v_mul_f64_e32 v[139:140], s[50:51], v[86:87]
	s_delay_alu instid0(VALU_DEP_4) | instskip(NEXT) | instid1(VALU_DEP_2)
	v_add_f64_e32 v[111:112], v[113:114], v[111:112]
	v_fma_f64 v[141:142], v[18:19], s[10:11], v[139:140]
	v_fma_f64 v[113:114], v[18:19], s[10:11], -v[139:140]
	v_mul_f64_e32 v[139:140], s[52:53], v[102:103]
	s_delay_alu instid0(VALU_DEP_3) | instskip(SKIP_1) | instid1(VALU_DEP_4)
	v_add_f64_e32 v[12:13], v[141:142], v[12:13]
	v_mul_f64_e32 v[141:142], s[50:51], v[78:79]
	v_add_f64_e32 v[109:110], v[113:114], v[109:110]
	s_delay_alu instid0(VALU_DEP_2) | instskip(SKIP_2) | instid1(VALU_DEP_3)
	v_fma_f64 v[143:144], v[16:17], s[10:11], -v[141:142]
	v_fma_f64 v[113:114], v[16:17], s[10:11], v[141:142]
	v_mul_f64_e32 v[141:142], s[52:53], v[74:75]
	v_add_f64_e32 v[14:15], v[143:144], v[14:15]
	v_mul_f64_e32 v[143:144], s[28:29], v[90:91]
	s_delay_alu instid0(VALU_DEP_4) | instskip(NEXT) | instid1(VALU_DEP_2)
	v_add_f64_e32 v[111:112], v[113:114], v[111:112]
	v_fma_f64 v[153:154], v[22:23], s[22:23], v[143:144]
	v_fma_f64 v[113:114], v[22:23], s[22:23], -v[143:144]
	v_mul_f64_e32 v[143:144], s[28:29], v[100:101]
	s_delay_alu instid0(VALU_DEP_3) | instskip(SKIP_1) | instid1(VALU_DEP_4)
	v_add_f64_e32 v[12:13], v[153:154], v[12:13]
	v_mul_f64_e32 v[153:154], s[28:29], v[84:85]
	v_add_f64_e32 v[109:110], v[113:114], v[109:110]
	s_delay_alu instid0(VALU_DEP_2) | instskip(SKIP_3) | instid1(VALU_DEP_4)
	v_fma_f64 v[155:156], v[20:21], s[22:23], -v[153:154]
	v_fma_f64 v[113:114], v[20:21], s[22:23], v[153:154]
	v_mul_f64_e32 v[153:154], s[38:39], v[86:87]
	v_mul_f64_e32 v[86:87], s[36:37], v[86:87]
	v_add_f64_e32 v[14:15], v[155:156], v[14:15]
	v_mul_f64_e32 v[155:156], s[30:31], v[98:99]
	v_add_f64_e32 v[111:112], v[113:114], v[111:112]
	s_delay_alu instid0(VALU_DEP_2)
	v_fma_f64 v[169:170], v[32:33], s[4:5], v[155:156]
	v_fma_f64 v[113:114], v[32:33], s[4:5], -v[155:156]
	v_mul_f64_e32 v[155:156], s[38:39], v[78:79]
	scratch_load_b64 v[78:79], off, off offset:156 th:TH_LOAD_LU ; 8-byte Folded Reload
	v_add_f64_e32 v[12:13], v[169:170], v[12:13]
	v_mul_f64_e32 v[169:170], s[30:31], v[88:89]
	v_add_f64_e32 v[109:110], v[113:114], v[109:110]
	s_delay_alu instid0(VALU_DEP_2) | instskip(SKIP_2) | instid1(VALU_DEP_3)
	v_fma_f64 v[171:172], v[30:31], s[4:5], -v[169:170]
	v_fma_f64 v[113:114], v[30:31], s[4:5], v[169:170]
	v_mul_f64_e32 v[169:170], s[26:27], v[84:85]
	v_add_f64_e32 v[14:15], v[171:172], v[14:15]
	v_mul_f64_e32 v[171:172], s[34:35], v[80:81]
	s_delay_alu instid0(VALU_DEP_4) | instskip(NEXT) | instid1(VALU_DEP_2)
	v_add_f64_e32 v[111:112], v[113:114], v[111:112]
	v_fma_f64 v[173:174], v[58:59], s[20:21], v[171:172]
	v_fma_f64 v[113:114], v[58:59], s[20:21], -v[171:172]
	v_mul_f64_e32 v[171:172], s[48:49], v[98:99]
	s_delay_alu instid0(VALU_DEP_3) | instskip(SKIP_1) | instid1(VALU_DEP_4)
	v_add_f64_e32 v[12:13], v[173:174], v[12:13]
	v_mul_f64_e32 v[173:174], s[34:35], v[82:83]
	v_add_f64_e32 v[109:110], v[113:114], v[109:110]
	s_delay_alu instid0(VALU_DEP_2) | instskip(SKIP_2) | instid1(VALU_DEP_3)
	v_fma_f64 v[113:114], v[28:29], s[20:21], v[173:174]
	v_fma_f64 v[175:176], v[28:29], s[20:21], -v[173:174]
	v_mul_f64_e32 v[173:174], s[48:49], v[88:89]
	v_add_f64_e32 v[113:114], v[113:114], v[111:112]
	s_delay_alu instid0(VALU_DEP_3)
	v_add_f64_e32 v[175:176], v[175:176], v[14:15]
	v_fma_f64 v[14:15], v[92:93], s[14:15], v[177:178]
	v_fma_f64 v[111:112], v[92:93], s[14:15], -v[177:178]
	v_mul_f64_e32 v[177:178], s[30:31], v[82:83]
	v_mul_f64_e32 v[82:83], s[28:29], v[82:83]
	v_add_f64_e32 v[159:160], v[115:116], v[113:114]
	v_fma_f64 v[113:114], v[70:71], s[14:15], v[139:140]
	v_fma_f64 v[115:116], v[68:69], s[14:15], -v[141:142]
	v_add_f64_e32 v[2:3], v[14:15], v[12:13]
	v_fma_f64 v[12:13], v[56:57], s[14:15], -v[179:180]
	v_mul_f64_e32 v[179:180], s[44:45], v[94:95]
	v_add_f64_e32 v[161:162], v[111:112], v[109:110]
	v_mul_f64_e32 v[111:112], s[46:47], v[84:85]
	v_mul_f64_e32 v[109:110], s[24:25], v[98:99]
	s_mov_b32 s47, 0x3fe0d888
	s_mov_b32 s46, s38
	;; [unrolled: 1-line block ×3, first 2 shown]
	s_wait_alu 0xfffe
	v_mul_f64_e32 v[226:227], s[46:47], v[90:91]
	v_mul_f64_e32 v[228:229], s[46:47], v[84:85]
	s_mov_b32 s44, s30
	v_fma_f64 v[14:15], v[68:69], s[4:5], v[54:55]
	s_wait_alu 0xfffe
	v_mul_f64_e32 v[244:245], s[44:45], v[100:101]
	v_mul_f64_e32 v[246:247], s[44:45], v[72:73]
	;; [unrolled: 1-line block ×6, first 2 shown]
	v_add_f64_e32 v[113:114], v[113:114], v[117:118]
	v_add_f64_e32 v[115:116], v[115:116], v[145:146]
	v_fma_f64 v[117:118], v[76:77], s[22:23], v[143:144]
	v_mul_f64_e32 v[145:146], s[28:29], v[72:73]
	v_add_f64_e32 v[0:1], v[12:13], v[175:176]
	v_mul_f64_e32 v[175:176], s[30:31], v[80:81]
	v_mul_f64_e32 v[12:13], s[24:25], v[88:89]
	v_add_f64_e32 v[14:15], v[14:15], v[131:132]
	v_add_f64_e32 v[113:114], v[117:118], v[113:114]
	v_fma_f64 v[117:118], v[34:35], s[22:23], -v[145:146]
	scratch_store_b128 off, v[0:3], off offset:92 ; 16-byte Folded Spill
	v_mul_f64_e32 v[0:1], s[48:49], v[102:103]
	v_mul_f64_e32 v[2:3], s[28:29], v[88:89]
	;; [unrolled: 1-line block ×3, first 2 shown]
	v_add_f64_e32 v[115:116], v[117:118], v[115:116]
	v_fma_f64 v[117:118], v[18:19], s[6:7], v[153:154]
	scratch_store_b64 off, v[0:1], off offset:172 ; 8-byte Folded Spill
	v_add_f64_e32 v[113:114], v[117:118], v[113:114]
	v_fma_f64 v[117:118], v[16:17], s[6:7], -v[155:156]
	s_delay_alu instid0(VALU_DEP_1) | instskip(SKIP_1) | instid1(VALU_DEP_1)
	v_add_f64_e32 v[115:116], v[117:118], v[115:116]
	v_fma_f64 v[117:118], v[22:23], s[16:17], v[157:158]
	v_add_f64_e32 v[113:114], v[117:118], v[113:114]
	v_fma_f64 v[117:118], v[20:21], s[16:17], -v[169:170]
	s_delay_alu instid0(VALU_DEP_1) | instskip(SKIP_1) | instid1(VALU_DEP_1)
	v_add_f64_e32 v[115:116], v[117:118], v[115:116]
	v_fma_f64 v[117:118], v[32:33], s[20:21], v[171:172]
	;; [unrolled: 5-line block ×4, first 2 shown]
	v_add_f64_e32 v[115:116], v[115:116], v[113:114]
	v_fma_f64 v[113:114], v[56:57], s[18:19], -v[181:182]
	s_delay_alu instid0(VALU_DEP_1) | instskip(SKIP_2) | instid1(VALU_DEP_2)
	v_add_f64_e32 v[113:114], v[113:114], v[117:118]
	v_fma_f64 v[117:118], v[70:71], s[20:21], -v[0:1]
	v_mul_f64_e32 v[0:1], s[48:49], v[74:75]
	v_add_f64_e32 v[117:118], v[117:118], v[119:120]
	scratch_store_b64 off, v[0:1], off offset:180 ; 8-byte Folded Spill
	v_fma_f64 v[119:120], v[68:69], s[20:21], v[0:1]
	v_mul_f64_e32 v[0:1], s[36:37], v[100:101]
	s_delay_alu instid0(VALU_DEP_2) | instskip(NEXT) | instid1(VALU_DEP_2)
	v_add_f64_e32 v[119:120], v[119:120], v[123:124]
	v_fma_f64 v[123:124], v[76:77], s[18:19], -v[0:1]
	scratch_store_b64 off, v[0:1], off offset:188 ; 8-byte Folded Spill
	v_mul_f64_e32 v[0:1], s[52:53], v[100:101]
	v_mul_f64_e32 v[100:101], s[34:35], v[100:101]
	v_add_f64_e32 v[117:118], v[123:124], v[117:118]
	v_fma_f64 v[123:124], v[34:35], s[18:19], v[163:164]
	s_delay_alu instid0(VALU_DEP_4) | instskip(NEXT) | instid1(VALU_DEP_2)
	v_fma_f64 v[62:63], v[76:77], s[14:15], -v[0:1]
	v_add_f64_e32 v[119:120], v[123:124], v[119:120]
	v_fma_f64 v[123:124], v[18:19], s[16:17], -v[149:150]
	s_delay_alu instid0(VALU_DEP_1) | instskip(SKIP_1) | instid1(VALU_DEP_1)
	v_add_f64_e32 v[117:118], v[123:124], v[117:118]
	v_fma_f64 v[123:124], v[16:17], s[16:17], v[147:148]
	v_add_f64_e32 v[119:120], v[123:124], v[119:120]
	v_fma_f64 v[123:124], v[22:23], s[14:15], -v[137:138]
	s_delay_alu instid0(VALU_DEP_1) | instskip(SKIP_1) | instid1(VALU_DEP_1)
	v_add_f64_e32 v[117:118], v[123:124], v[117:118]
	v_fma_f64 v[123:124], v[20:21], s[14:15], v[111:112]
	v_add_f64_e32 v[119:120], v[123:124], v[119:120]
	v_fma_f64 v[123:124], v[32:33], s[10:11], -v[109:110]
	s_delay_alu instid0(VALU_DEP_1) | instskip(SKIP_2) | instid1(VALU_DEP_2)
	v_add_f64_e32 v[117:118], v[123:124], v[117:118]
	v_fma_f64 v[123:124], v[30:31], s[10:11], v[12:13]
	v_fma_f64 v[12:13], v[30:31], s[10:11], -v[12:13]
	v_add_f64_e32 v[119:120], v[123:124], v[119:120]
	v_fma_f64 v[123:124], v[58:59], s[6:7], -v[133:134]
	s_delay_alu instid0(VALU_DEP_1) | instskip(SKIP_1) | instid1(VALU_DEP_1)
	v_add_f64_e32 v[117:118], v[123:124], v[117:118]
	v_fma_f64 v[123:124], v[28:29], s[6:7], v[60:61]
	v_add_f64_e32 v[123:124], v[123:124], v[119:120]
	v_fma_f64 v[119:120], v[92:93], s[4:5], -v[26:27]
	s_delay_alu instid0(VALU_DEP_1) | instskip(SKIP_1) | instid1(VALU_DEP_1)
	v_add_f64_e32 v[119:120], v[119:120], v[117:118]
	v_fma_f64 v[117:118], v[56:57], s[4:5], v[212:213]
	;; [unrolled: 5-line block ×9, first 2 shown]
	v_add_f64_e32 v[121:122], v[121:122], v[125:126]
	v_fma_f64 v[125:126], v[70:71], s[10:11], -v[242:243]
	s_delay_alu instid0(VALU_DEP_1) | instskip(SKIP_1) | instid1(VALU_DEP_1)
	v_add_f64_e32 v[125:126], v[125:126], v[135:136]
	v_mul_f64_e32 v[135:136], s[24:25], v[74:75]
	v_fma_f64 v[129:130], v[68:69], s[10:11], v[135:136]
	s_delay_alu instid0(VALU_DEP_1) | instskip(SKIP_1) | instid1(VALU_DEP_1)
	v_add_f64_e32 v[127:128], v[129:130], v[127:128]
	v_fma_f64 v[129:130], v[76:77], s[4:5], -v[244:245]
	v_add_f64_e32 v[125:126], v[129:130], v[125:126]
	v_fma_f64 v[129:130], v[34:35], s[4:5], v[246:247]
	s_delay_alu instid0(VALU_DEP_1) | instskip(SKIP_1) | instid1(VALU_DEP_1)
	v_add_f64_e32 v[127:128], v[129:130], v[127:128]
	v_fma_f64 v[129:130], v[18:19], s[14:15], -v[248:249]
	v_add_f64_e32 v[125:126], v[129:130], v[125:126]
	v_fma_f64 v[129:130], v[16:17], s[14:15], v[250:251]
	s_delay_alu instid0(VALU_DEP_1) | instskip(SKIP_1) | instid1(VALU_DEP_1)
	v_add_f64_e32 v[127:128], v[129:130], v[127:128]
	v_fma_f64 v[129:130], v[22:23], s[20:21], -v[252:253]
	v_add_f64_e32 v[125:126], v[129:130], v[125:126]
	v_fma_f64 v[129:130], v[20:21], s[20:21], v[210:211]
	s_delay_alu instid0(VALU_DEP_1) | instskip(SKIP_1) | instid1(VALU_DEP_1)
	v_add_f64_e32 v[127:128], v[129:130], v[127:128]
	v_fma_f64 v[129:130], v[32:33], s[22:23], -v[4:5]
	v_add_f64_e32 v[125:126], v[129:130], v[125:126]
	v_fma_f64 v[129:130], v[30:31], s[22:23], v[2:3]
	s_delay_alu instid0(VALU_DEP_1) | instskip(SKIP_1) | instid1(VALU_DEP_2)
	v_add_f64_e32 v[127:128], v[129:130], v[127:128]
	v_fma_f64 v[129:130], v[58:59], s[16:17], -v[24:25]
	v_add_f64_e32 v[6:7], v[6:7], v[127:128]
	s_delay_alu instid0(VALU_DEP_2) | instskip(NEXT) | instid1(VALU_DEP_1)
	v_add_f64_e32 v[125:126], v[129:130], v[125:126]
	v_add_f64_e32 v[127:128], v[10:11], v[125:126]
	v_mul_f64_e32 v[10:11], s[38:39], v[96:97]
	s_delay_alu instid0(VALU_DEP_1) | instskip(SKIP_1) | instid1(VALU_DEP_2)
	v_fma_f64 v[125:126], v[56:57], s[6:7], v[10:11]
	v_fma_f64 v[10:11], v[56:57], s[6:7], -v[10:11]
	v_add_f64_e32 v[125:126], v[125:126], v[6:7]
	v_mul_f64_e32 v[6:7], s[30:31], v[102:103]
	s_delay_alu instid0(VALU_DEP_1) | instskip(SKIP_1) | instid1(VALU_DEP_2)
	v_fma_f64 v[129:130], v[70:71], s[4:5], -v[6:7]
	v_fma_f64 v[6:7], v[70:71], s[4:5], v[6:7]
	v_add_f64_e32 v[106:107], v[129:130], v[106:107]
	s_delay_alu instid0(VALU_DEP_1) | instskip(SKIP_2) | instid1(VALU_DEP_2)
	v_add_f64_e32 v[62:63], v[62:63], v[106:107]
	v_mul_f64_e32 v[106:107], s[52:53], v[72:73]
	v_fma_f64 v[72:73], v[34:35], s[20:21], v[165:166]
	v_fma_f64 v[129:130], v[34:35], s[14:15], v[106:107]
	s_delay_alu instid0(VALU_DEP_1) | instskip(SKIP_1) | instid1(VALU_DEP_1)
	v_add_f64_e32 v[14:15], v[129:130], v[14:15]
	v_fma_f64 v[129:130], v[18:19], s[22:23], -v[8:9]
	v_add_f64_e32 v[62:63], v[129:130], v[62:63]
	v_fma_f64 v[129:130], v[16:17], s[22:23], v[193:194]
	s_delay_alu instid0(VALU_DEP_1) | instskip(SKIP_1) | instid1(VALU_DEP_1)
	v_add_f64_e32 v[14:15], v[129:130], v[14:15]
	v_fma_f64 v[129:130], v[22:23], s[18:19], -v[195:196]
	v_add_f64_e32 v[62:63], v[129:130], v[62:63]
	;; [unrolled: 5-line block ×5, first 2 shown]
	v_mul_f64_e32 v[62:63], s[34:35], v[96:97]
	v_mul_f64_e32 v[96:97], s[24:25], v[96:97]
	s_delay_alu instid0(VALU_DEP_2) | instskip(SKIP_1) | instid1(VALU_DEP_2)
	v_fma_f64 v[129:130], v[56:57], s[20:21], v[62:63]
	v_fma_f64 v[62:63], v[56:57], s[20:21], -v[62:63]
	v_add_f64_e32 v[129:130], v[129:130], v[14:15]
	v_mul_f64_e32 v[14:15], s[46:47], v[102:103]
	s_delay_alu instid0(VALU_DEP_1) | instskip(SKIP_1) | instid1(VALU_DEP_2)
	v_fma_f64 v[102:103], v[70:71], s[6:7], -v[14:15]
	v_fma_f64 v[14:15], v[70:71], s[6:7], v[14:15]
	v_add_f64_e32 v[66:67], v[102:103], v[66:67]
	v_mul_f64_e32 v[102:103], s[46:47], v[74:75]
	s_delay_alu instid0(VALU_DEP_1) | instskip(NEXT) | instid1(VALU_DEP_1)
	v_fma_f64 v[74:75], v[68:69], s[6:7], v[102:103]
	v_add_f64_e32 v[64:65], v[74:75], v[64:65]
	v_fma_f64 v[74:75], v[76:77], s[20:21], -v[100:101]
	s_delay_alu instid0(VALU_DEP_2) | instskip(NEXT) | instid1(VALU_DEP_2)
	v_add_f64_e32 v[64:65], v[72:73], v[64:65]
	v_add_f64_e32 v[66:67], v[74:75], v[66:67]
	v_fma_f64 v[72:73], v[18:19], s[18:19], -v[86:87]
	s_delay_alu instid0(VALU_DEP_1) | instskip(SKIP_1) | instid1(VALU_DEP_1)
	v_add_f64_e32 v[66:67], v[72:73], v[66:67]
	v_fma_f64 v[72:73], v[16:17], s[18:19], v[205:206]
	v_add_f64_e32 v[64:65], v[72:73], v[64:65]
	v_fma_f64 v[72:73], v[22:23], s[4:5], -v[90:91]
	s_delay_alu instid0(VALU_DEP_1) | instskip(SKIP_1) | instid1(VALU_DEP_1)
	v_add_f64_e32 v[66:67], v[72:73], v[66:67]
	v_fma_f64 v[72:73], v[20:21], s[4:5], v[84:85]
	;; [unrolled: 5-line block ×5, first 2 shown]
	v_add_f64_e32 v[72:73], v[66:67], v[64:65]
	scratch_load_b64 v[66:67], off, off offset:164 th:TH_LOAD_LU ; 8-byte Folded Reload
	v_fma_f64 v[64:65], v[70:71], s[14:15], -v[139:140]
	v_fma_f64 v[139:140], v[56:57], s[18:19], v[181:182]
	s_wait_loadcnt 0x0
	s_delay_alu instid0(VALU_DEP_2) | instskip(SKIP_1) | instid1(VALU_DEP_1)
	v_add_f64_e32 v[64:65], v[64:65], v[66:67]
	v_fma_f64 v[66:67], v[68:69], s[14:15], v[141:142]
	v_add_f64_e32 v[66:67], v[66:67], v[78:79]
	v_fma_f64 v[78:79], v[76:77], s[22:23], -v[143:144]
	s_delay_alu instid0(VALU_DEP_1) | instskip(SKIP_1) | instid1(VALU_DEP_1)
	v_add_f64_e32 v[64:65], v[78:79], v[64:65]
	v_fma_f64 v[78:79], v[34:35], s[22:23], v[145:146]
	v_add_f64_e32 v[66:67], v[78:79], v[66:67]
	v_fma_f64 v[78:79], v[18:19], s[6:7], -v[153:154]
	s_delay_alu instid0(VALU_DEP_1) | instskip(SKIP_1) | instid1(VALU_DEP_1)
	;; [unrolled: 5-line block ×3, first 2 shown]
	v_add_f64_e32 v[64:65], v[78:79], v[64:65]
	v_fma_f64 v[78:79], v[20:21], s[16:17], v[169:170]
	v_add_f64_e32 v[66:67], v[78:79], v[66:67]
	v_fma_f64 v[78:79], v[32:33], s[20:21], -v[171:172]
	v_dual_mov_b32 v172, v39 :: v_dual_mov_b32 v171, v38
	v_dual_mov_b32 v170, v37 :: v_dual_mov_b32 v169, v36
	scratch_load_b64 v[36:37], off, off offset:148 th:TH_LOAD_LU ; 8-byte Folded Reload
	v_add_f64_e32 v[64:65], v[78:79], v[64:65]
	v_fma_f64 v[78:79], v[30:31], s[20:21], v[173:174]
	s_delay_alu instid0(VALU_DEP_1) | instskip(SKIP_1) | instid1(VALU_DEP_1)
	v_add_f64_e32 v[66:67], v[78:79], v[66:67]
	v_fma_f64 v[78:79], v[58:59], s[4:5], -v[175:176]
	v_add_f64_e32 v[64:65], v[78:79], v[64:65]
	v_fma_f64 v[78:79], v[28:29], s[4:5], v[177:178]
	s_delay_alu instid0(VALU_DEP_1) | instskip(SKIP_1) | instid1(VALU_DEP_1)
	v_add_f64_e32 v[66:67], v[78:79], v[66:67]
	v_fma_f64 v[78:79], v[92:93], s[18:19], -v[179:180]
	v_add_f64_e32 v[80:81], v[78:79], v[64:65]
	s_delay_alu instid0(VALU_DEP_3)
	v_add_f64_e32 v[78:79], v[139:140], v[66:67]
	v_fma_f64 v[64:65], v[68:69], s[6:7], -v[102:103]
	v_fma_f64 v[66:67], v[76:77], s[20:21], v[100:101]
	s_wait_loadcnt 0x0
	v_add_f64_e32 v[14:15], v[14:15], v[36:37]
	scratch_load_b64 v[36:37], off, off offset:140 th:TH_LOAD_LU ; 8-byte Folded Reload
	v_add_f64_e32 v[14:15], v[66:67], v[14:15]
	v_fma_f64 v[66:67], v[34:35], s[20:21], -v[165:166]
	s_wait_loadcnt 0x0
	v_add_f64_e32 v[64:65], v[64:65], v[36:37]
	s_delay_alu instid0(VALU_DEP_1) | instskip(SKIP_1) | instid1(VALU_DEP_1)
	v_add_f64_e32 v[64:65], v[66:67], v[64:65]
	v_fma_f64 v[66:67], v[18:19], s[18:19], v[86:87]
	v_add_f64_e32 v[14:15], v[66:67], v[14:15]
	v_fma_f64 v[66:67], v[16:17], s[18:19], -v[205:206]
	s_delay_alu instid0(VALU_DEP_1) | instskip(SKIP_1) | instid1(VALU_DEP_1)
	v_add_f64_e32 v[64:65], v[66:67], v[64:65]
	v_fma_f64 v[66:67], v[22:23], s[4:5], v[90:91]
	v_add_f64_e32 v[14:15], v[66:67], v[14:15]
	v_fma_f64 v[66:67], v[20:21], s[4:5], -v[84:85]
	;; [unrolled: 5-line block ×4, first 2 shown]
	v_fma_f64 v[82:83], v[56:57], s[10:11], -v[96:97]
	s_delay_alu instid0(VALU_DEP_2) | instskip(SKIP_1) | instid1(VALU_DEP_2)
	v_add_f64_e32 v[64:65], v[66:67], v[64:65]
	v_fma_f64 v[66:67], v[92:93], s[10:11], v[94:95]
	v_add_f64_e32 v[82:83], v[82:83], v[64:65]
	s_delay_alu instid0(VALU_DEP_2)
	v_add_f64_e32 v[84:85], v[66:67], v[14:15]
	scratch_load_b64 v[14:15], off, off offset:132 th:TH_LOAD_LU ; 8-byte Folded Reload
	v_fma_f64 v[64:65], v[34:35], s[14:15], -v[106:107]
	s_wait_loadcnt 0x0
	v_add_f64_e32 v[6:7], v[6:7], v[14:15]
	v_fma_f64 v[14:15], v[76:77], s[14:15], v[0:1]
	scratch_load_b64 v[0:1], off, off offset:124 th:TH_LOAD_LU ; 8-byte Folded Reload
	v_add_f64_e32 v[6:7], v[14:15], v[6:7]
	v_fma_f64 v[14:15], v[18:19], s[22:23], v[8:9]
	v_fma_f64 v[8:9], v[58:59], s[6:7], v[133:134]
	s_delay_alu instid0(VALU_DEP_2) | instskip(SKIP_1) | instid1(VALU_DEP_1)
	v_add_f64_e32 v[6:7], v[14:15], v[6:7]
	v_fma_f64 v[14:15], v[22:23], s[18:19], v[195:196]
	v_add_f64_e32 v[6:7], v[14:15], v[6:7]
	v_fma_f64 v[14:15], v[32:33], s[6:7], v[151:152]
	s_delay_alu instid0(VALU_DEP_1) | instskip(SKIP_2) | instid1(VALU_DEP_1)
	v_add_f64_e32 v[6:7], v[14:15], v[6:7]
	v_fma_f64 v[14:15], v[68:69], s[4:5], -v[54:55]
	s_wait_loadcnt 0x0
	v_add_f64_e32 v[14:15], v[14:15], v[0:1]
	scratch_load_b64 v[0:1], off, off offset:116 th:TH_LOAD_LU ; 8-byte Folded Reload
	v_add_f64_e32 v[14:15], v[64:65], v[14:15]
	v_fma_f64 v[64:65], v[16:17], s[22:23], -v[193:194]
	s_delay_alu instid0(VALU_DEP_1) | instskip(SKIP_1) | instid1(VALU_DEP_1)
	v_add_f64_e32 v[14:15], v[64:65], v[14:15]
	v_fma_f64 v[64:65], v[20:21], s[18:19], -v[197:198]
	v_add_f64_e32 v[14:15], v[64:65], v[14:15]
	v_fma_f64 v[64:65], v[30:31], s[6:7], -v[199:200]
	s_delay_alu instid0(VALU_DEP_1) | instskip(SKIP_1) | instid1(VALU_DEP_1)
	v_add_f64_e32 v[14:15], v[64:65], v[14:15]
	v_fma_f64 v[64:65], v[58:59], s[10:11], v[201:202]
	v_add_f64_e32 v[6:7], v[64:65], v[6:7]
	v_fma_f64 v[64:65], v[28:29], s[10:11], -v[167:168]
	s_delay_alu instid0(VALU_DEP_1) | instskip(SKIP_1) | instid1(VALU_DEP_2)
	v_add_f64_e32 v[14:15], v[64:65], v[14:15]
	v_fma_f64 v[64:65], v[92:93], s[20:21], v[203:204]
	v_add_f64_e32 v[86:87], v[62:63], v[14:15]
	s_delay_alu instid0(VALU_DEP_2) | instskip(SKIP_4) | instid1(VALU_DEP_3)
	v_add_f64_e32 v[88:89], v[64:65], v[6:7]
	v_fma_f64 v[6:7], v[70:71], s[10:11], v[242:243]
	v_fma_f64 v[14:15], v[68:69], s[10:11], -v[135:136]
	v_fma_f64 v[62:63], v[76:77], s[4:5], v[244:245]
	s_wait_loadcnt 0x0
	v_add_f64_e32 v[6:7], v[6:7], v[0:1]
	scratch_load_b64 v[0:1], off, off offset:108 th:TH_LOAD_LU ; 8-byte Folded Reload
	v_add_f64_e32 v[6:7], v[62:63], v[6:7]
	v_fma_f64 v[62:63], v[34:35], s[4:5], -v[246:247]
	s_wait_loadcnt 0x0
	v_add_f64_e32 v[14:15], v[14:15], v[0:1]
	v_fma_f64 v[0:1], v[30:31], s[22:23], -v[2:3]
	scratch_load_b64 v[2:3], off, off offset:84 th:TH_LOAD_LU ; 8-byte Folded Reload
	v_add_f64_e32 v[14:15], v[62:63], v[14:15]
	v_fma_f64 v[62:63], v[18:19], s[14:15], v[248:249]
	s_delay_alu instid0(VALU_DEP_1) | instskip(SKIP_1) | instid1(VALU_DEP_1)
	v_add_f64_e32 v[6:7], v[62:63], v[6:7]
	v_fma_f64 v[62:63], v[16:17], s[14:15], -v[250:251]
	v_add_f64_e32 v[14:15], v[62:63], v[14:15]
	v_fma_f64 v[62:63], v[22:23], s[20:21], v[252:253]
	v_mov_b32_e32 v253, v105
	s_delay_alu instid0(VALU_DEP_2) | instskip(SKIP_1) | instid1(VALU_DEP_1)
	v_add_f64_e32 v[6:7], v[62:63], v[6:7]
	v_fma_f64 v[62:63], v[20:21], s[20:21], -v[210:211]
	v_add_f64_e32 v[14:15], v[62:63], v[14:15]
	v_fma_f64 v[62:63], v[32:33], s[22:23], v[4:5]
	v_fma_f64 v[4:5], v[28:29], s[6:7], -v[60:61]
	s_delay_alu instid0(VALU_DEP_3) | instskip(NEXT) | instid1(VALU_DEP_3)
	v_add_f64_e32 v[0:1], v[0:1], v[14:15]
	v_add_f64_e32 v[6:7], v[62:63], v[6:7]
	v_fma_f64 v[14:15], v[58:59], s[16:17], v[24:25]
	s_delay_alu instid0(VALU_DEP_1) | instskip(SKIP_4) | instid1(VALU_DEP_4)
	v_add_f64_e32 v[6:7], v[14:15], v[6:7]
	v_fma_f64 v[14:15], v[28:29], s[16:17], -v[183:184]
	v_mov_b32_e32 v184, v51
	v_dual_mov_b32 v182, v49 :: v_dual_mov_b32 v183, v50
	v_mov_b32_e32 v181, v48
	v_add_f64_e32 v[0:1], v[14:15], v[0:1]
	v_fma_f64 v[14:15], v[92:93], s[6:7], v[52:53]
	s_delay_alu instid0(VALU_DEP_2) | instskip(SKIP_1) | instid1(VALU_DEP_3)
	v_add_f64_e32 v[94:95], v[10:11], v[0:1]
	v_fma_f64 v[0:1], v[70:71], s[16:17], v[214:215]
	v_add_f64_e32 v[96:97], v[14:15], v[6:7]
	v_fma_f64 v[6:7], v[68:69], s[16:17], -v[216:217]
	v_fma_f64 v[10:11], v[76:77], s[10:11], v[218:219]
	v_fma_f64 v[14:15], v[56:57], s[22:23], -v[240:241]
	s_wait_loadcnt 0x0
	v_add_f64_e32 v[0:1], v[0:1], v[2:3]
	scratch_load_b64 v[2:3], off, off offset:76 th:TH_LOAD_LU ; 8-byte Folded Reload
	v_add_f64_e32 v[0:1], v[10:11], v[0:1]
	v_fma_f64 v[10:11], v[34:35], s[10:11], -v[220:221]
	v_mov_b32_e32 v220, v108
	s_wait_loadcnt 0x0
	v_add_f64_e32 v[6:7], v[6:7], v[2:3]
	scratch_load_b64 v[2:3], off, off offset:180 th:TH_LOAD_LU ; 8-byte Folded Reload
	v_add_f64_e32 v[6:7], v[10:11], v[6:7]
	v_fma_f64 v[10:11], v[18:19], s[4:5], v[222:223]
	v_fma_f64 v[18:19], v[18:19], s[16:17], v[149:150]
	s_delay_alu instid0(VALU_DEP_2) | instskip(SKIP_1) | instid1(VALU_DEP_1)
	v_add_f64_e32 v[0:1], v[10:11], v[0:1]
	v_fma_f64 v[10:11], v[16:17], s[4:5], -v[224:225]
	v_add_f64_e32 v[6:7], v[10:11], v[6:7]
	v_fma_f64 v[10:11], v[22:23], s[6:7], v[226:227]
	s_delay_alu instid0(VALU_DEP_1) | instskip(SKIP_1) | instid1(VALU_DEP_1)
	v_add_f64_e32 v[0:1], v[10:11], v[0:1]
	v_fma_f64 v[10:11], v[20:21], s[6:7], -v[228:229]
	v_add_f64_e32 v[6:7], v[10:11], v[6:7]
	v_fma_f64 v[10:11], v[32:33], s[14:15], v[230:231]
	s_delay_alu instid0(VALU_DEP_1) | instskip(SKIP_1) | instid1(VALU_DEP_1)
	;; [unrolled: 5-line block ×3, first 2 shown]
	v_add_f64_e32 v[0:1], v[10:11], v[0:1]
	v_fma_f64 v[10:11], v[28:29], s[18:19], -v[236:237]
	v_add_f64_e32 v[6:7], v[10:11], v[6:7]
	v_fma_f64 v[10:11], v[92:93], s[22:23], v[238:239]
	s_delay_alu instid0(VALU_DEP_2) | instskip(NEXT) | instid1(VALU_DEP_2)
	v_add_f64_e32 v[64:65], v[14:15], v[6:7]
	v_add_f64_e32 v[66:67], v[10:11], v[0:1]
	scratch_load_b64 v[0:1], off, off offset:172 th:TH_LOAD_LU ; 8-byte Folded Reload
	v_fma_f64 v[14:15], v[34:35], s[18:19], -v[163:164]
	s_wait_loadcnt 0x1
	v_fma_f64 v[6:7], v[68:69], s[20:21], -v[2:3]
	scratch_load_b64 v[2:3], off, off offset:188 th:TH_LOAD_LU ; 8-byte Folded Reload
	s_wait_loadcnt 0x0
	v_fma_f64 v[10:11], v[76:77], s[18:19], v[2:3]
	scratch_load_b64 v[2:3], off, off offset:68 th:TH_LOAD_LU ; 8-byte Folded Reload
	v_fma_f64 v[0:1], v[70:71], s[20:21], v[0:1]
	s_wait_loadcnt 0x0
	s_delay_alu instid0(VALU_DEP_1) | instskip(SKIP_4) | instid1(VALU_DEP_3)
	v_add_f64_e32 v[0:1], v[0:1], v[2:3]
	scratch_load_b64 v[2:3], off, off offset:60 th:TH_LOAD_LU ; 8-byte Folded Reload
	v_add_f64_e32 v[0:1], v[10:11], v[0:1]
	v_fma_f64 v[10:11], v[16:17], s[16:17], -v[147:148]
	v_fma_f64 v[16:17], v[20:21], s[14:15], -v[111:112]
	v_add_f64_e32 v[0:1], v[18:19], v[0:1]
	s_wait_loadcnt 0x0
	v_add_f64_e32 v[6:7], v[6:7], v[2:3]
	scratch_load_b32 v2, off, off offset:4  ; 4-byte Folded Reload
	v_add_f64_e32 v[6:7], v[14:15], v[6:7]
	v_fma_f64 v[14:15], v[22:23], s[14:15], v[137:138]
	s_delay_alu instid0(VALU_DEP_2) | instskip(SKIP_1) | instid1(VALU_DEP_3)
	v_add_f64_e32 v[6:7], v[10:11], v[6:7]
	v_fma_f64 v[10:11], v[32:33], s[10:11], v[109:110]
	v_add_f64_e32 v[0:1], v[14:15], v[0:1]
	s_delay_alu instid0(VALU_DEP_3) | instskip(NEXT) | instid1(VALU_DEP_2)
	v_add_f64_e32 v[6:7], v[16:17], v[6:7]
	v_add_f64_e32 v[0:1], v[10:11], v[0:1]
	s_delay_alu instid0(VALU_DEP_2) | instskip(NEXT) | instid1(VALU_DEP_2)
	v_add_f64_e32 v[6:7], v[12:13], v[6:7]
	v_add_f64_e32 v[0:1], v[8:9], v[0:1]
	v_fma_f64 v[8:9], v[56:57], s[4:5], -v[212:213]
	s_delay_alu instid0(VALU_DEP_3) | instskip(NEXT) | instid1(VALU_DEP_1)
	v_add_f64_e32 v[4:5], v[4:5], v[6:7]
	v_add_f64_e32 v[16:17], v[8:9], v[4:5]
	s_wait_loadcnt 0x0
	v_or_b32_e32 v108, 0x70, v2
	v_fma_f64 v[2:3], v[92:93], s[4:5], v[26:27]
	s_delay_alu instid0(VALU_DEP_1) | instskip(SKIP_3) | instid1(VALU_DEP_1)
	v_add_f64_e32 v[18:19], v[2:3], v[0:1]
	scratch_load_b32 v1, off, off th:TH_LOAD_LU ; 4-byte Folded Reload
	v_and_b32_e32 v0, 0xffff, v255
	s_wait_loadcnt 0x0
	v_lshl_add_u32 v0, v0, 4, v1
	scratch_load_b128 v[1:4], off, off offset:12 th:TH_LOAD_LU ; 16-byte Folded Reload
	s_wait_loadcnt 0x0
	ds_store_b128 v0, v[1:4]
	ds_store_b128 v0, v[117:120] offset:16
	ds_store_b128 v0, v[121:124] offset:32
	ds_store_b128 v0, v[125:128] offset:48
	ds_store_b128 v0, v[129:132] offset:64
	ds_store_b128 v0, v[72:75] offset:80
	ds_store_b128 v0, v[78:81] offset:96
	ds_store_b128 v0, v[159:162] offset:112
	scratch_load_b128 v[1:4], off, off offset:44 th:TH_LOAD_LU ; 16-byte Folded Reload
	s_wait_loadcnt 0x0
	ds_store_b128 v0, v[1:4] offset:128
	scratch_load_b128 v[1:4], off, off offset:28 th:TH_LOAD_LU ; 16-byte Folded Reload
	s_wait_loadcnt 0x0
	ds_store_b128 v0, v[1:4] offset:144
	scratch_load_b128 v[1:4], off, off offset:92 th:TH_LOAD_LU ; 16-byte Folded Reload
	s_wait_loadcnt 0x0
	ds_store_b128 v0, v[1:4] offset:160
	ds_store_b128 v0, v[113:116] offset:176
	ds_store_b128 v0, v[82:85] offset:192
	ds_store_b128 v0, v[86:89] offset:208
	ds_store_b128 v0, v[94:97] offset:224
	ds_store_b128 v0, v[64:67] offset:240
	ds_store_b128 v0, v[16:19] offset:256
.LBB0_13:
	s_or_b32 exec_lo, exec_lo, s33
	global_wb scope:SCOPE_SE
	s_wait_storecnt_dscnt 0x0
	s_barrier_signal -1
	s_barrier_wait -1
	global_inv scope:SCOPE_SE
	ds_load_b128 v[0:3], v209 offset:272
	ds_load_b128 v[4:7], v209 offset:544
	;; [unrolled: 1-line block ×6, first 2 shown]
	s_mov_b32 s4, 0x37e14327
	s_mov_b32 s5, 0x3fe948f6
	;; [unrolled: 1-line block ×10, first 2 shown]
	s_wait_dscnt 0x5
	v_mul_f64_e32 v[24:25], v[42:43], v[2:3]
	v_mul_f64_e32 v[26:27], v[42:43], v[0:1]
	s_wait_dscnt 0x4
	v_mul_f64_e32 v[28:29], v[171:172], v[6:7]
	v_mul_f64_e32 v[30:31], v[171:172], v[4:5]
	;; [unrolled: 3-line block ×6, first 2 shown]
	v_fma_f64 v[0:1], v[40:41], v[0:1], v[24:25]
	v_fma_f64 v[2:3], v[40:41], v[2:3], -v[26:27]
	v_fma_f64 v[4:5], v[169:170], v[4:5], v[28:29]
	v_fma_f64 v[6:7], v[169:170], v[6:7], -v[30:31]
	;; [unrolled: 2-line block ×6, first 2 shown]
	v_add_f64_e32 v[24:25], v[0:1], v[8:9]
	v_add_f64_e32 v[26:27], v[2:3], v[10:11]
	;; [unrolled: 1-line block ×4, first 2 shown]
	v_add_f64_e64 v[4:5], v[4:5], -v[12:13]
	v_add_f64_e64 v[6:7], v[6:7], -v[14:15]
	v_add_f64_e32 v[32:33], v[16:17], v[20:21]
	v_add_f64_e32 v[34:35], v[18:19], v[22:23]
	v_add_f64_e64 v[12:13], v[20:21], -v[16:17]
	v_add_f64_e64 v[14:15], v[22:23], -v[18:19]
	;; [unrolled: 1-line block ×4, first 2 shown]
	v_add_f64_e32 v[0:1], v[28:29], v[24:25]
	v_add_f64_e32 v[2:3], v[30:31], v[26:27]
	v_add_f64_e64 v[16:17], v[24:25], -v[32:33]
	v_add_f64_e64 v[18:19], v[26:27], -v[34:35]
	v_add_f64_e64 v[20:21], v[32:33], -v[28:29]
	v_add_f64_e64 v[22:23], v[34:35], -v[30:31]
	v_add_f64_e64 v[36:37], v[12:13], -v[4:5]
	v_add_f64_e64 v[38:39], v[14:15], -v[6:7]
	v_add_f64_e64 v[40:41], v[4:5], -v[8:9]
	v_add_f64_e64 v[42:43], v[6:7], -v[10:11]
	v_add_f64_e64 v[24:25], v[28:29], -v[24:25]
	v_add_f64_e64 v[26:27], v[30:31], -v[26:27]
	v_add_f64_e32 v[4:5], v[12:13], v[4:5]
	v_add_f64_e32 v[6:7], v[14:15], v[6:7]
	v_add_f64_e64 v[12:13], v[8:9], -v[12:13]
	v_add_f64_e64 v[14:15], v[10:11], -v[14:15]
	v_add_f64_e32 v[32:33], v[32:33], v[0:1]
	v_add_f64_e32 v[34:35], v[34:35], v[2:3]
	ds_load_b128 v[0:3], v209
	s_wait_alu 0xfffe
	v_mul_f64_e32 v[16:17], s[4:5], v[16:17]
	v_mul_f64_e32 v[18:19], s[4:5], v[18:19]
	s_mov_b32 s4, 0x429ad128
	v_mul_f64_e32 v[28:29], s[6:7], v[20:21]
	v_mul_f64_e32 v[30:31], s[6:7], v[22:23]
	;; [unrolled: 1-line block ×4, first 2 shown]
	s_mov_b32 s5, 0xbfebfeb5
	s_mov_b32 s10, 0xaaaaaaaa
	s_wait_alu 0xfffe
	v_mul_f64_e32 v[44:45], s[4:5], v[40:41]
	v_mul_f64_e32 v[46:47], s[4:5], v[42:43]
	s_mov_b32 s11, 0xbff2aaaa
	v_add_f64_e32 v[4:5], v[4:5], v[8:9]
	v_add_f64_e32 v[6:7], v[6:7], v[10:11]
	s_wait_dscnt 0x0
	v_add_f64_e32 v[0:1], v[0:1], v[32:33]
	v_add_f64_e32 v[2:3], v[2:3], v[34:35]
	v_fma_f64 v[8:9], v[20:21], s[6:7], v[16:17]
	v_fma_f64 v[10:11], v[22:23], s[6:7], v[18:19]
	v_fma_f64 v[20:21], v[24:25], s[14:15], -v[28:29]
	v_fma_f64 v[22:23], v[26:27], s[14:15], -v[30:31]
	s_mov_b32 s15, 0xbfe77f67
	v_fma_f64 v[28:29], v[12:13], s[16:17], v[36:37]
	v_fma_f64 v[30:31], v[14:15], s[16:17], v[38:39]
	s_mov_b32 s17, 0x3fd5d0dc
	v_fma_f64 v[36:37], v[40:41], s[4:5], -v[36:37]
	v_fma_f64 v[38:39], v[42:43], s[4:5], -v[38:39]
	s_wait_alu 0xfffe
	v_fma_f64 v[12:13], v[12:13], s[16:17], -v[44:45]
	v_fma_f64 v[14:15], v[14:15], s[16:17], -v[46:47]
	;; [unrolled: 1-line block ×4, first 2 shown]
	s_mov_b32 s4, 0x37c3f68c
	s_mov_b32 s5, 0xbfdc38aa
	v_fma_f64 v[32:33], v[32:33], s[10:11], v[0:1]
	v_fma_f64 v[34:35], v[34:35], s[10:11], v[2:3]
	s_wait_alu 0xfffe
	v_fma_f64 v[26:27], v[4:5], s[4:5], v[28:29]
	v_fma_f64 v[24:25], v[6:7], s[4:5], v[30:31]
	;; [unrolled: 1-line block ×6, first 2 shown]
	v_add_f64_e32 v[40:41], v[8:9], v[32:33]
	v_add_f64_e32 v[42:43], v[10:11], v[34:35]
	v_add_f64_e32 v[44:45], v[16:17], v[32:33]
	v_add_f64_e32 v[46:47], v[18:19], v[34:35]
	v_add_f64_e32 v[16:17], v[20:21], v[32:33]
	v_add_f64_e32 v[18:19], v[22:23], v[34:35]
	v_add_f64_e32 v[4:5], v[24:25], v[40:41]
	v_add_f64_e64 v[6:7], v[42:43], -v[26:27]
	v_add_f64_e32 v[8:9], v[38:39], v[44:45]
	v_add_f64_e64 v[10:11], v[46:47], -v[36:37]
	v_add_f64_e64 v[12:13], v[16:17], -v[30:31]
	v_add_f64_e32 v[14:15], v[28:29], v[18:19]
	v_add_f64_e32 v[16:17], v[30:31], v[16:17]
	v_add_f64_e64 v[18:19], v[18:19], -v[28:29]
	v_add_f64_e64 v[20:21], v[44:45], -v[38:39]
	v_add_f64_e32 v[22:23], v[36:37], v[46:47]
	v_add_f64_e64 v[24:25], v[40:41], -v[24:25]
	v_add_f64_e32 v[26:27], v[26:27], v[42:43]
	ds_store_b128 v104, v[0:3]
	ds_store_b128 v104, v[4:7] offset:272
	ds_store_b128 v104, v[8:11] offset:544
	;; [unrolled: 1-line block ×6, first 2 shown]
	global_wb scope:SCOPE_SE
	s_wait_dscnt 0x0
	s_barrier_signal -1
	s_barrier_wait -1
	global_inv scope:SCOPE_SE
	s_and_b32 exec_lo, exec_lo, vcc_lo
	s_cbranch_execz .LBB0_15
; %bb.14:
	global_load_b128 v[0:3], v220, s[8:9]
	ds_load_b128 v[4:7], v104
	ds_load_b128 v[8:11], v104 offset:112
	scratch_load_b32 v15, off, off offset:4 th:TH_LOAD_LU ; 4-byte Folded Reload
	s_mov_b32 s4, 0x1135c811
	s_mov_b32 s5, 0x3f8135c8
	s_wait_loadcnt_dscnt 0x101
	v_mul_f64_e32 v[12:13], v[6:7], v[2:3]
	v_mul_f64_e32 v[2:3], v[4:5], v[2:3]
	s_delay_alu instid0(VALU_DEP_2) | instskip(NEXT) | instid1(VALU_DEP_2)
	v_fma_f64 v[4:5], v[4:5], v[0:1], v[12:13]
	v_fma_f64 v[0:1], v[0:1], v[6:7], -v[2:3]
	v_mad_co_u64_u32 v[6:7], null, s2, v254, 0
	s_wait_loadcnt 0x0
	v_mad_co_u64_u32 v[12:13], null, s0, v15, 0
	s_wait_alu 0xfffe
	s_delay_alu instid0(VALU_DEP_4) | instskip(NEXT) | instid1(VALU_DEP_4)
	v_mul_f64_e32 v[2:3], s[4:5], v[4:5]
	v_mul_f64_e32 v[4:5], s[4:5], v[0:1]
	s_delay_alu instid0(VALU_DEP_3) | instskip(NEXT) | instid1(VALU_DEP_1)
	v_dual_mov_b32 v0, v7 :: v_dual_mov_b32 v1, v13
	v_mad_co_u64_u32 v[13:14], null, s3, v254, v[0:1]
	s_mul_u64 s[2:3], s[0:1], 0x70
	s_delay_alu instid0(VALU_DEP_1) | instskip(SKIP_1) | instid1(VALU_DEP_1)
	v_mov_b32_e32 v7, v13
	v_mad_co_u64_u32 v[0:1], null, s1, v15, v[1:2]
	v_mov_b32_e32 v13, v0
	s_delay_alu instid0(VALU_DEP_3) | instskip(NEXT) | instid1(VALU_DEP_2)
	v_lshlrev_b64_e32 v[0:1], 4, v[6:7]
	v_lshlrev_b64_e32 v[6:7], 4, v[12:13]
	s_delay_alu instid0(VALU_DEP_2) | instskip(NEXT) | instid1(VALU_DEP_3)
	v_add_co_u32 v0, vcc_lo, s12, v0
	v_add_co_ci_u32_e32 v1, vcc_lo, s13, v1, vcc_lo
	s_delay_alu instid0(VALU_DEP_2) | instskip(SKIP_1) | instid1(VALU_DEP_2)
	v_add_co_u32 v6, vcc_lo, v0, v6
	s_wait_alu 0xfffd
	v_add_co_ci_u32_e32 v7, vcc_lo, v1, v7, vcc_lo
	s_wait_alu 0xfffe
	s_delay_alu instid0(VALU_DEP_2)
	v_add_co_u32 v14, vcc_lo, v6, s2
	global_store_b128 v[6:7], v[2:5], off
	global_load_b128 v[2:5], v220, s[8:9] offset:112
	s_wait_alu 0xfffd
	v_add_co_ci_u32_e32 v15, vcc_lo, s3, v7, vcc_lo
	s_wait_loadcnt_dscnt 0x0
	v_mul_f64_e32 v[12:13], v[10:11], v[4:5]
	v_mul_f64_e32 v[4:5], v[8:9], v[4:5]
	s_delay_alu instid0(VALU_DEP_2) | instskip(NEXT) | instid1(VALU_DEP_2)
	v_fma_f64 v[8:9], v[8:9], v[2:3], v[12:13]
	v_fma_f64 v[4:5], v[2:3], v[10:11], -v[4:5]
	s_delay_alu instid0(VALU_DEP_2) | instskip(NEXT) | instid1(VALU_DEP_2)
	v_mul_f64_e32 v[2:3], s[4:5], v[8:9]
	v_mul_f64_e32 v[4:5], s[4:5], v[4:5]
	global_store_b128 v[14:15], v[2:5], off
	global_load_b128 v[2:5], v220, s[8:9] offset:224
	ds_load_b128 v[6:9], v104 offset:224
	ds_load_b128 v[10:13], v104 offset:336
	s_wait_loadcnt_dscnt 0x1
	v_mul_f64_e32 v[16:17], v[8:9], v[4:5]
	v_mul_f64_e32 v[4:5], v[6:7], v[4:5]
	s_delay_alu instid0(VALU_DEP_2) | instskip(NEXT) | instid1(VALU_DEP_2)
	v_fma_f64 v[6:7], v[6:7], v[2:3], v[16:17]
	v_fma_f64 v[4:5], v[2:3], v[8:9], -v[4:5]
	s_delay_alu instid0(VALU_DEP_2) | instskip(NEXT) | instid1(VALU_DEP_2)
	v_mul_f64_e32 v[2:3], s[4:5], v[6:7]
	v_mul_f64_e32 v[4:5], s[4:5], v[4:5]
	v_add_co_u32 v6, vcc_lo, v14, s2
	s_wait_alu 0xfffd
	v_add_co_ci_u32_e32 v7, vcc_lo, s3, v15, vcc_lo
	s_delay_alu instid0(VALU_DEP_2) | instskip(SKIP_1) | instid1(VALU_DEP_2)
	v_add_co_u32 v14, vcc_lo, v6, s2
	s_wait_alu 0xfffd
	v_add_co_ci_u32_e32 v15, vcc_lo, s3, v7, vcc_lo
	global_store_b128 v[6:7], v[2:5], off
	global_load_b128 v[2:5], v220, s[8:9] offset:336
	s_wait_loadcnt_dscnt 0x0
	v_mul_f64_e32 v[8:9], v[12:13], v[4:5]
	v_mul_f64_e32 v[4:5], v[10:11], v[4:5]
	s_delay_alu instid0(VALU_DEP_2) | instskip(NEXT) | instid1(VALU_DEP_2)
	v_fma_f64 v[8:9], v[10:11], v[2:3], v[8:9]
	v_fma_f64 v[4:5], v[2:3], v[12:13], -v[4:5]
	s_delay_alu instid0(VALU_DEP_2) | instskip(NEXT) | instid1(VALU_DEP_2)
	v_mul_f64_e32 v[2:3], s[4:5], v[8:9]
	v_mul_f64_e32 v[4:5], s[4:5], v[4:5]
	global_store_b128 v[14:15], v[2:5], off
	global_load_b128 v[2:5], v220, s[8:9] offset:448
	ds_load_b128 v[6:9], v104 offset:448
	ds_load_b128 v[10:13], v104 offset:560
	s_wait_loadcnt_dscnt 0x1
	v_mul_f64_e32 v[16:17], v[8:9], v[4:5]
	v_mul_f64_e32 v[4:5], v[6:7], v[4:5]
	s_delay_alu instid0(VALU_DEP_2) | instskip(NEXT) | instid1(VALU_DEP_2)
	v_fma_f64 v[6:7], v[6:7], v[2:3], v[16:17]
	v_fma_f64 v[4:5], v[2:3], v[8:9], -v[4:5]
	s_delay_alu instid0(VALU_DEP_2) | instskip(NEXT) | instid1(VALU_DEP_2)
	v_mul_f64_e32 v[2:3], s[4:5], v[6:7]
	v_mul_f64_e32 v[4:5], s[4:5], v[4:5]
	v_add_co_u32 v6, vcc_lo, v14, s2
	s_wait_alu 0xfffd
	v_add_co_ci_u32_e32 v7, vcc_lo, s3, v15, vcc_lo
	s_delay_alu instid0(VALU_DEP_2) | instskip(SKIP_1) | instid1(VALU_DEP_2)
	v_add_co_u32 v14, vcc_lo, v6, s2
	s_wait_alu 0xfffd
	v_add_co_ci_u32_e32 v15, vcc_lo, s3, v7, vcc_lo
	global_store_b128 v[6:7], v[2:5], off
	global_load_b128 v[2:5], v220, s[8:9] offset:560
	;; [unrolled: 31-line block ×3, first 2 shown]
	s_wait_loadcnt_dscnt 0x0
	v_mul_f64_e32 v[8:9], v[12:13], v[4:5]
	v_mul_f64_e32 v[4:5], v[10:11], v[4:5]
	s_delay_alu instid0(VALU_DEP_2) | instskip(NEXT) | instid1(VALU_DEP_2)
	v_fma_f64 v[8:9], v[10:11], v[2:3], v[8:9]
	v_fma_f64 v[4:5], v[2:3], v[12:13], -v[4:5]
	s_delay_alu instid0(VALU_DEP_2) | instskip(NEXT) | instid1(VALU_DEP_2)
	v_mul_f64_e32 v[2:3], s[4:5], v[8:9]
	v_mul_f64_e32 v[4:5], s[4:5], v[4:5]
	global_store_b128 v[14:15], v[2:5], off
	global_load_b128 v[2:5], v220, s[8:9] offset:896
	ds_load_b128 v[6:9], v104 offset:896
	ds_load_b128 v[10:13], v104 offset:1008
	v_mad_co_u64_u32 v[14:15], null, 0xe0, s0, v[14:15]
	s_wait_loadcnt_dscnt 0x1
	v_mul_f64_e32 v[16:17], v[8:9], v[4:5]
	v_mul_f64_e32 v[4:5], v[6:7], v[4:5]
	s_delay_alu instid0(VALU_DEP_2) | instskip(NEXT) | instid1(VALU_DEP_2)
	v_fma_f64 v[6:7], v[6:7], v[2:3], v[16:17]
	v_fma_f64 v[4:5], v[2:3], v[8:9], -v[4:5]
	v_mad_co_u64_u32 v[8:9], null, s0, v253, 0
	s_delay_alu instid0(VALU_DEP_3) | instskip(NEXT) | instid1(VALU_DEP_3)
	v_mul_f64_e32 v[2:3], s[4:5], v[6:7]
	v_mul_f64_e32 v[4:5], s[4:5], v[4:5]
	s_delay_alu instid0(VALU_DEP_3) | instskip(NEXT) | instid1(VALU_DEP_1)
	v_mov_b32_e32 v6, v9
	v_mad_co_u64_u32 v[6:7], null, s1, v253, v[6:7]
	s_delay_alu instid0(VALU_DEP_1) | instskip(NEXT) | instid1(VALU_DEP_1)
	v_mov_b32_e32 v9, v6
	v_lshlrev_b64_e32 v[6:7], 4, v[8:9]
	s_delay_alu instid0(VALU_DEP_1) | instskip(SKIP_1) | instid1(VALU_DEP_2)
	v_add_co_u32 v6, vcc_lo, v0, v6
	s_wait_alu 0xfffd
	v_add_co_ci_u32_e32 v7, vcc_lo, v1, v7, vcc_lo
	global_store_b128 v[6:7], v[2:5], off
	global_load_b128 v[2:5], v220, s[8:9] offset:1008
	s_wait_loadcnt_dscnt 0x0
	v_mul_f64_e32 v[6:7], v[12:13], v[4:5]
	v_mul_f64_e32 v[4:5], v[10:11], v[4:5]
	s_delay_alu instid0(VALU_DEP_2) | instskip(NEXT) | instid1(VALU_DEP_2)
	v_fma_f64 v[6:7], v[10:11], v[2:3], v[6:7]
	v_fma_f64 v[4:5], v[2:3], v[12:13], -v[4:5]
	s_delay_alu instid0(VALU_DEP_2) | instskip(SKIP_1) | instid1(VALU_DEP_3)
	v_mul_f64_e32 v[2:3], s[4:5], v[6:7]
	v_mov_b32_e32 v6, v15
	v_mul_f64_e32 v[4:5], s[4:5], v[4:5]
	s_delay_alu instid0(VALU_DEP_2) | instskip(NEXT) | instid1(VALU_DEP_1)
	v_mad_co_u64_u32 v[6:7], null, 0xe0, s1, v[6:7]
	v_mov_b32_e32 v15, v6
	global_store_b128 v[14:15], v[2:5], off
	global_load_b128 v[2:5], v220, s[8:9] offset:1120
	ds_load_b128 v[6:9], v104 offset:1120
	ds_load_b128 v[10:13], v104 offset:1232
	s_wait_loadcnt_dscnt 0x1
	v_mul_f64_e32 v[16:17], v[8:9], v[4:5]
	v_mul_f64_e32 v[4:5], v[6:7], v[4:5]
	s_delay_alu instid0(VALU_DEP_2) | instskip(NEXT) | instid1(VALU_DEP_2)
	v_fma_f64 v[6:7], v[6:7], v[2:3], v[16:17]
	v_fma_f64 v[4:5], v[2:3], v[8:9], -v[4:5]
	s_delay_alu instid0(VALU_DEP_2) | instskip(NEXT) | instid1(VALU_DEP_2)
	v_mul_f64_e32 v[2:3], s[4:5], v[6:7]
	v_mul_f64_e32 v[4:5], s[4:5], v[4:5]
	v_add_co_u32 v6, vcc_lo, v14, s2
	s_wait_alu 0xfffd
	v_add_co_ci_u32_e32 v7, vcc_lo, s3, v15, vcc_lo
	s_delay_alu instid0(VALU_DEP_2) | instskip(SKIP_1) | instid1(VALU_DEP_2)
	v_add_co_u32 v14, vcc_lo, v6, s2
	s_wait_alu 0xfffd
	v_add_co_ci_u32_e32 v15, vcc_lo, s3, v7, vcc_lo
	global_store_b128 v[6:7], v[2:5], off
	global_load_b128 v[2:5], v220, s[8:9] offset:1232
	s_wait_loadcnt_dscnt 0x0
	v_mul_f64_e32 v[8:9], v[12:13], v[4:5]
	v_mul_f64_e32 v[4:5], v[10:11], v[4:5]
	s_delay_alu instid0(VALU_DEP_2) | instskip(NEXT) | instid1(VALU_DEP_2)
	v_fma_f64 v[8:9], v[10:11], v[2:3], v[8:9]
	v_fma_f64 v[4:5], v[2:3], v[12:13], -v[4:5]
	s_delay_alu instid0(VALU_DEP_2) | instskip(NEXT) | instid1(VALU_DEP_2)
	v_mul_f64_e32 v[2:3], s[4:5], v[8:9]
	v_mul_f64_e32 v[4:5], s[4:5], v[4:5]
	global_store_b128 v[14:15], v[2:5], off
	global_load_b128 v[2:5], v220, s[8:9] offset:1344
	ds_load_b128 v[6:9], v104 offset:1344
	ds_load_b128 v[10:13], v104 offset:1456
	s_wait_loadcnt_dscnt 0x1
	v_mul_f64_e32 v[16:17], v[8:9], v[4:5]
	v_mul_f64_e32 v[4:5], v[6:7], v[4:5]
	s_delay_alu instid0(VALU_DEP_2) | instskip(NEXT) | instid1(VALU_DEP_2)
	v_fma_f64 v[6:7], v[6:7], v[2:3], v[16:17]
	v_fma_f64 v[4:5], v[2:3], v[8:9], -v[4:5]
	s_delay_alu instid0(VALU_DEP_2) | instskip(NEXT) | instid1(VALU_DEP_2)
	v_mul_f64_e32 v[2:3], s[4:5], v[6:7]
	v_mul_f64_e32 v[4:5], s[4:5], v[4:5]
	v_add_co_u32 v6, vcc_lo, v14, s2
	s_wait_alu 0xfffd
	v_add_co_ci_u32_e32 v7, vcc_lo, s3, v15, vcc_lo
	s_delay_alu instid0(VALU_DEP_2) | instskip(SKIP_1) | instid1(VALU_DEP_2)
	v_add_co_u32 v14, vcc_lo, v6, s2
	s_wait_alu 0xfffd
	v_add_co_ci_u32_e32 v15, vcc_lo, s3, v7, vcc_lo
	global_store_b128 v[6:7], v[2:5], off
	global_load_b128 v[2:5], v220, s[8:9] offset:1456
	s_wait_loadcnt_dscnt 0x0
	v_mul_f64_e32 v[8:9], v[12:13], v[4:5]
	v_mul_f64_e32 v[4:5], v[10:11], v[4:5]
	s_delay_alu instid0(VALU_DEP_2) | instskip(NEXT) | instid1(VALU_DEP_2)
	v_fma_f64 v[8:9], v[10:11], v[2:3], v[8:9]
	v_fma_f64 v[4:5], v[2:3], v[12:13], -v[4:5]
	s_delay_alu instid0(VALU_DEP_2) | instskip(NEXT) | instid1(VALU_DEP_2)
	v_mul_f64_e32 v[2:3], s[4:5], v[8:9]
	v_mul_f64_e32 v[4:5], s[4:5], v[4:5]
	global_store_b128 v[14:15], v[2:5], off
	global_load_b128 v[2:5], v220, s[8:9] offset:1568
	ds_load_b128 v[6:9], v104 offset:1568
	ds_load_b128 v[10:13], v104 offset:1680
	s_wait_loadcnt_dscnt 0x1
	v_mul_f64_e32 v[16:17], v[8:9], v[4:5]
	v_mul_f64_e32 v[4:5], v[6:7], v[4:5]
	s_delay_alu instid0(VALU_DEP_2) | instskip(NEXT) | instid1(VALU_DEP_2)
	v_fma_f64 v[6:7], v[6:7], v[2:3], v[16:17]
	v_fma_f64 v[4:5], v[2:3], v[8:9], -v[4:5]
	s_delay_alu instid0(VALU_DEP_2) | instskip(NEXT) | instid1(VALU_DEP_2)
	v_mul_f64_e32 v[2:3], s[4:5], v[6:7]
	v_mul_f64_e32 v[4:5], s[4:5], v[4:5]
	v_add_co_u32 v6, vcc_lo, v14, s2
	s_wait_alu 0xfffd
	v_add_co_ci_u32_e32 v7, vcc_lo, s3, v15, vcc_lo
	global_store_b128 v[6:7], v[2:5], off
	global_load_b128 v[2:5], v220, s[8:9] offset:1680
	v_add_co_u32 v6, vcc_lo, v6, s2
	s_wait_alu 0xfffd
	v_add_co_ci_u32_e32 v7, vcc_lo, s3, v7, vcc_lo
	s_wait_loadcnt_dscnt 0x0
	v_mul_f64_e32 v[8:9], v[12:13], v[4:5]
	v_mul_f64_e32 v[4:5], v[10:11], v[4:5]
	s_delay_alu instid0(VALU_DEP_2) | instskip(NEXT) | instid1(VALU_DEP_2)
	v_fma_f64 v[8:9], v[10:11], v[2:3], v[8:9]
	v_fma_f64 v[4:5], v[2:3], v[12:13], -v[4:5]
	s_delay_alu instid0(VALU_DEP_2) | instskip(NEXT) | instid1(VALU_DEP_2)
	v_mul_f64_e32 v[2:3], s[4:5], v[8:9]
	v_mul_f64_e32 v[4:5], s[4:5], v[4:5]
	global_store_b128 v[6:7], v[2:5], off
	global_load_b128 v[2:5], v220, s[8:9] offset:1792
	ds_load_b128 v[6:9], v104 offset:1792
	s_wait_loadcnt_dscnt 0x0
	v_mul_f64_e32 v[10:11], v[8:9], v[4:5]
	v_mul_f64_e32 v[4:5], v[6:7], v[4:5]
	s_delay_alu instid0(VALU_DEP_2) | instskip(NEXT) | instid1(VALU_DEP_2)
	v_fma_f64 v[6:7], v[6:7], v[2:3], v[10:11]
	v_fma_f64 v[4:5], v[2:3], v[8:9], -v[4:5]
	v_mad_co_u64_u32 v[8:9], null, s0, v108, 0
	s_delay_alu instid0(VALU_DEP_3) | instskip(NEXT) | instid1(VALU_DEP_2)
	v_mul_f64_e32 v[2:3], s[4:5], v[6:7]
	v_mov_b32_e32 v6, v9
	s_delay_alu instid0(VALU_DEP_4) | instskip(NEXT) | instid1(VALU_DEP_2)
	v_mul_f64_e32 v[4:5], s[4:5], v[4:5]
	v_mad_co_u64_u32 v[6:7], null, s1, v108, v[6:7]
	s_delay_alu instid0(VALU_DEP_1) | instskip(NEXT) | instid1(VALU_DEP_1)
	v_mov_b32_e32 v9, v6
	v_lshlrev_b64_e32 v[6:7], 4, v[8:9]
	s_delay_alu instid0(VALU_DEP_1) | instskip(SKIP_1) | instid1(VALU_DEP_2)
	v_add_co_u32 v0, vcc_lo, v0, v6
	s_wait_alu 0xfffd
	v_add_co_ci_u32_e32 v1, vcc_lo, v1, v7, vcc_lo
	global_store_b128 v[0:1], v[2:5], off
.LBB0_15:
	s_nop 0
	s_sendmsg sendmsg(MSG_DEALLOC_VGPRS)
	s_endpgm
	.section	.rodata,"a",@progbits
	.p2align	6, 0x0
	.amdhsa_kernel bluestein_single_fwd_len119_dim1_dp_op_CI_CI
		.amdhsa_group_segment_fixed_size 28560
		.amdhsa_private_segment_fixed_size 408
		.amdhsa_kernarg_size 104
		.amdhsa_user_sgpr_count 2
		.amdhsa_user_sgpr_dispatch_ptr 0
		.amdhsa_user_sgpr_queue_ptr 0
		.amdhsa_user_sgpr_kernarg_segment_ptr 1
		.amdhsa_user_sgpr_dispatch_id 0
		.amdhsa_user_sgpr_private_segment_size 0
		.amdhsa_wavefront_size32 1
		.amdhsa_uses_dynamic_stack 0
		.amdhsa_enable_private_segment 1
		.amdhsa_system_sgpr_workgroup_id_x 1
		.amdhsa_system_sgpr_workgroup_id_y 0
		.amdhsa_system_sgpr_workgroup_id_z 0
		.amdhsa_system_sgpr_workgroup_info 0
		.amdhsa_system_vgpr_workitem_id 0
		.amdhsa_next_free_vgpr 256
		.amdhsa_next_free_sgpr 54
		.amdhsa_reserve_vcc 1
		.amdhsa_float_round_mode_32 0
		.amdhsa_float_round_mode_16_64 0
		.amdhsa_float_denorm_mode_32 3
		.amdhsa_float_denorm_mode_16_64 3
		.amdhsa_fp16_overflow 0
		.amdhsa_workgroup_processor_mode 1
		.amdhsa_memory_ordered 1
		.amdhsa_forward_progress 0
		.amdhsa_round_robin_scheduling 0
		.amdhsa_exception_fp_ieee_invalid_op 0
		.amdhsa_exception_fp_denorm_src 0
		.amdhsa_exception_fp_ieee_div_zero 0
		.amdhsa_exception_fp_ieee_overflow 0
		.amdhsa_exception_fp_ieee_underflow 0
		.amdhsa_exception_fp_ieee_inexact 0
		.amdhsa_exception_int_div_zero 0
	.end_amdhsa_kernel
	.text
.Lfunc_end0:
	.size	bluestein_single_fwd_len119_dim1_dp_op_CI_CI, .Lfunc_end0-bluestein_single_fwd_len119_dim1_dp_op_CI_CI
                                        ; -- End function
	.section	.AMDGPU.csdata,"",@progbits
; Kernel info:
; codeLenInByte = 19360
; NumSgprs: 56
; NumVgprs: 256
; ScratchSize: 408
; MemoryBound: 0
; FloatMode: 240
; IeeeMode: 1
; LDSByteSize: 28560 bytes/workgroup (compile time only)
; SGPRBlocks: 6
; VGPRBlocks: 31
; NumSGPRsForWavesPerEU: 56
; NumVGPRsForWavesPerEU: 256
; Occupancy: 5
; WaveLimiterHint : 1
; COMPUTE_PGM_RSRC2:SCRATCH_EN: 1
; COMPUTE_PGM_RSRC2:USER_SGPR: 2
; COMPUTE_PGM_RSRC2:TRAP_HANDLER: 0
; COMPUTE_PGM_RSRC2:TGID_X_EN: 1
; COMPUTE_PGM_RSRC2:TGID_Y_EN: 0
; COMPUTE_PGM_RSRC2:TGID_Z_EN: 0
; COMPUTE_PGM_RSRC2:TIDIG_COMP_CNT: 0
	.text
	.p2alignl 7, 3214868480
	.fill 96, 4, 3214868480
	.type	__hip_cuid_a346f61bc075e725,@object ; @__hip_cuid_a346f61bc075e725
	.section	.bss,"aw",@nobits
	.globl	__hip_cuid_a346f61bc075e725
__hip_cuid_a346f61bc075e725:
	.byte	0                               ; 0x0
	.size	__hip_cuid_a346f61bc075e725, 1

	.ident	"AMD clang version 19.0.0git (https://github.com/RadeonOpenCompute/llvm-project roc-6.4.0 25133 c7fe45cf4b819c5991fe208aaa96edf142730f1d)"
	.section	".note.GNU-stack","",@progbits
	.addrsig
	.addrsig_sym __hip_cuid_a346f61bc075e725
	.amdgpu_metadata
---
amdhsa.kernels:
  - .args:
      - .actual_access:  read_only
        .address_space:  global
        .offset:         0
        .size:           8
        .value_kind:     global_buffer
      - .actual_access:  read_only
        .address_space:  global
        .offset:         8
        .size:           8
        .value_kind:     global_buffer
      - .actual_access:  read_only
        .address_space:  global
        .offset:         16
        .size:           8
        .value_kind:     global_buffer
      - .actual_access:  read_only
        .address_space:  global
        .offset:         24
        .size:           8
        .value_kind:     global_buffer
      - .actual_access:  read_only
        .address_space:  global
        .offset:         32
        .size:           8
        .value_kind:     global_buffer
      - .offset:         40
        .size:           8
        .value_kind:     by_value
      - .address_space:  global
        .offset:         48
        .size:           8
        .value_kind:     global_buffer
      - .address_space:  global
        .offset:         56
        .size:           8
        .value_kind:     global_buffer
      - .address_space:  global
        .offset:         64
        .size:           8
        .value_kind:     global_buffer
      - .address_space:  global
        .offset:         72
        .size:           8
        .value_kind:     global_buffer
      - .offset:         80
        .size:           4
        .value_kind:     by_value
      - .address_space:  global
        .offset:         88
        .size:           8
        .value_kind:     global_buffer
      - .address_space:  global
        .offset:         96
        .size:           8
        .value_kind:     global_buffer
    .group_segment_fixed_size: 28560
    .kernarg_segment_align: 8
    .kernarg_segment_size: 104
    .language:       OpenCL C
    .language_version:
      - 2
      - 0
    .max_flat_workgroup_size: 255
    .name:           bluestein_single_fwd_len119_dim1_dp_op_CI_CI
    .private_segment_fixed_size: 408
    .sgpr_count:     56
    .sgpr_spill_count: 0
    .symbol:         bluestein_single_fwd_len119_dim1_dp_op_CI_CI.kd
    .uniform_work_group_size: 1
    .uses_dynamic_stack: false
    .vgpr_count:     256
    .vgpr_spill_count: 140
    .wavefront_size: 32
    .workgroup_processor_mode: 1
amdhsa.target:   amdgcn-amd-amdhsa--gfx1201
amdhsa.version:
  - 1
  - 2
...

	.end_amdgpu_metadata
